;; amdgpu-corpus repo=ROCm/rocFFT kind=compiled arch=gfx906 opt=O3
	.text
	.amdgcn_target "amdgcn-amd-amdhsa--gfx906"
	.amdhsa_code_object_version 6
	.protected	fft_rtc_fwd_len208_factors_13_16_wgs_144_tpt_16_dp_op_CI_CI_sbcc_twdbase8_2step ; -- Begin function fft_rtc_fwd_len208_factors_13_16_wgs_144_tpt_16_dp_op_CI_CI_sbcc_twdbase8_2step
	.globl	fft_rtc_fwd_len208_factors_13_16_wgs_144_tpt_16_dp_op_CI_CI_sbcc_twdbase8_2step
	.p2align	8
	.type	fft_rtc_fwd_len208_factors_13_16_wgs_144_tpt_16_dp_op_CI_CI_sbcc_twdbase8_2step,@function
fft_rtc_fwd_len208_factors_13_16_wgs_144_tpt_16_dp_op_CI_CI_sbcc_twdbase8_2step: ; @fft_rtc_fwd_len208_factors_13_16_wgs_144_tpt_16_dp_op_CI_CI_sbcc_twdbase8_2step
; %bb.0:
	s_load_dwordx4 s[0:3], s[4:5], 0x18
	s_load_dwordx2 s[30:31], s[4:5], 0x28
	s_mov_b32 s7, 0
	s_mov_b64 s[24:25], 0
	s_waitcnt lgkmcnt(0)
	s_load_dwordx2 s[28:29], s[0:1], 0x8
	s_waitcnt lgkmcnt(0)
	s_add_u32 s8, s28, -1
	s_addc_u32 s9, s29, -1
	s_add_u32 s10, 0, 0x71c4fc00
	s_addc_u32 s11, 0, 0x7c
	s_mul_hi_u32 s13, s10, -9
	s_add_i32 s11, s11, 0x1c71c6a0
	s_sub_i32 s13, s13, s10
	s_mul_i32 s16, s11, -9
	s_mul_i32 s12, s10, -9
	s_add_i32 s13, s13, s16
	s_mul_hi_u32 s14, s11, s12
	s_mul_i32 s15, s11, s12
	s_mul_i32 s17, s10, s13
	s_mul_hi_u32 s12, s10, s12
	s_mul_hi_u32 s16, s10, s13
	s_add_u32 s12, s12, s17
	s_addc_u32 s16, 0, s16
	s_add_u32 s12, s12, s15
	s_mul_hi_u32 s17, s11, s13
	s_addc_u32 s12, s16, s14
	s_addc_u32 s14, s17, 0
	s_mul_i32 s13, s11, s13
	s_add_u32 s12, s12, s13
	v_mov_b32_e32 v1, s12
	s_addc_u32 s13, 0, s14
	v_add_co_u32_e32 v1, vcc, s10, v1
	s_cmp_lg_u64 vcc, 0
	s_addc_u32 s10, s11, s13
	v_readfirstlane_b32 s13, v1
	s_mul_i32 s12, s8, s10
	s_mul_hi_u32 s14, s8, s13
	s_mul_hi_u32 s11, s8, s10
	s_add_u32 s12, s14, s12
	s_addc_u32 s11, 0, s11
	s_mul_hi_u32 s15, s9, s13
	s_mul_i32 s13, s9, s13
	s_add_u32 s12, s12, s13
	s_mul_hi_u32 s14, s9, s10
	s_addc_u32 s11, s11, s15
	s_addc_u32 s12, s14, 0
	s_mul_i32 s10, s9, s10
	s_add_u32 s10, s11, s10
	s_addc_u32 s11, 0, s12
	s_add_u32 s12, s10, 1
	s_addc_u32 s13, s11, 0
	s_add_u32 s14, s10, 2
	s_mul_i32 s16, s11, 9
	s_mul_hi_u32 s17, s10, 9
	s_addc_u32 s15, s11, 0
	s_add_i32 s17, s17, s16
	s_mul_i32 s16, s10, 9
	v_mov_b32_e32 v1, s16
	v_sub_co_u32_e32 v1, vcc, s8, v1
	s_cmp_lg_u64 vcc, 0
	s_subb_u32 s8, s9, s17
	v_subrev_co_u32_e32 v2, vcc, 9, v1
	s_cmp_lg_u64 vcc, 0
	s_subb_u32 s9, s8, 0
	v_readfirstlane_b32 s16, v2
	s_cmp_gt_u32 s16, 8
	s_cselect_b32 s16, -1, 0
	s_cmp_eq_u32 s9, 0
	s_cselect_b32 s9, s16, -1
	s_cmp_lg_u32 s9, 0
	s_cselect_b32 s9, s14, s12
	s_cselect_b32 s12, s15, s13
	v_readfirstlane_b32 s13, v1
	s_cmp_gt_u32 s13, 8
	s_cselect_b32 s13, -1, 0
	s_cmp_eq_u32 s8, 0
	s_cselect_b32 s8, s13, -1
	s_cmp_lg_u32 s8, 0
	s_cselect_b32 s9, s9, s10
	s_cselect_b32 s8, s12, s11
	s_add_u32 s36, s9, 1
	s_addc_u32 s37, s8, 0
	v_mov_b32_e32 v1, s36
	v_mov_b32_e32 v2, s37
	v_cmp_lt_u64_e32 vcc, s[6:7], v[1:2]
	s_cbranch_vccnz .LBB0_2
; %bb.1:
	v_cvt_f32_u32_e32 v1, s36
	s_sub_i32 s8, 0, s36
	s_mov_b32 s25, s7
	v_rcp_iflag_f32_e32 v1, v1
	v_mul_f32_e32 v1, 0x4f7ffffe, v1
	v_cvt_u32_f32_e32 v1, v1
	v_readfirstlane_b32 s9, v1
	s_mul_i32 s8, s8, s9
	s_mul_hi_u32 s8, s9, s8
	s_add_i32 s9, s9, s8
	s_mul_hi_u32 s8, s6, s9
	s_mul_i32 s10, s8, s36
	s_sub_i32 s10, s6, s10
	s_add_i32 s9, s8, 1
	s_sub_i32 s11, s10, s36
	s_cmp_ge_u32 s10, s36
	s_cselect_b32 s8, s9, s8
	s_cselect_b32 s10, s11, s10
	s_add_i32 s9, s8, 1
	s_cmp_ge_u32 s10, s36
	s_cselect_b32 s24, s9, s8
.LBB0_2:
	s_load_dwordx4 s[12:15], s[4:5], 0x60
	s_load_dwordx4 s[20:23], s[2:3], 0x0
	;; [unrolled: 1-line block ×3, first 2 shown]
	s_load_dwordx2 s[26:27], s[4:5], 0x0
	s_load_dwordx4 s[16:19], s[4:5], 0x8
	s_mul_i32 s4, s24, s37
	s_mul_hi_u32 s5, s24, s36
	s_add_i32 s5, s5, s4
	s_mul_i32 s4, s24, s36
	s_sub_u32 s52, s6, s4
	s_subb_u32 s4, 0, s5
	s_mul_i32 s4, s4, 9
	s_mul_hi_u32 s33, s52, 9
	s_add_i32 s33, s33, s4
	s_mul_i32 s52, s52, 9
	s_waitcnt lgkmcnt(0)
	s_mul_i32 s4, s22, s33
	s_mul_hi_u32 s5, s22, s52
	s_add_i32 s4, s5, s4
	s_mul_i32 s5, s23, s52
	s_add_i32 s35, s4, s5
	s_mul_i32 s4, s10, s33
	s_mul_hi_u32 s5, s10, s52
	v_cmp_lt_u64_e64 s[38:39], s[18:19], 3
	s_add_i32 s4, s5, s4
	s_mul_i32 s5, s11, s52
	s_mul_i32 s34, s22, s52
	s_add_i32 s5, s4, s5
	s_mul_i32 s4, s10, s52
	s_and_b64 vcc, exec, s[38:39]
	s_cbranch_vccnz .LBB0_12
; %bb.3:
	s_add_u32 s38, s30, 16
	s_addc_u32 s39, s31, 0
	s_add_u32 s40, s2, 16
	s_addc_u32 s41, s3, 0
	s_add_u32 s42, s0, 16
	v_mov_b32_e32 v1, s18
	s_addc_u32 s43, s1, 0
	s_mov_b64 s[44:45], 2
	s_mov_b32 s46, 0
	v_mov_b32_e32 v2, s19
.LBB0_4:                                ; =>This Inner Loop Header: Depth=1
	s_load_dwordx2 s[48:49], s[42:43], 0x0
	s_waitcnt lgkmcnt(0)
	s_or_b64 s[0:1], s[24:25], s[48:49]
	s_mov_b32 s47, s1
	s_cmp_lg_u64 s[46:47], 0
	s_cbranch_scc0 .LBB0_9
; %bb.5:                                ;   in Loop: Header=BB0_4 Depth=1
	v_cvt_f32_u32_e32 v3, s48
	v_cvt_f32_u32_e32 v4, s49
	s_sub_u32 s0, 0, s48
	s_subb_u32 s1, 0, s49
	v_mac_f32_e32 v3, 0x4f800000, v4
	v_rcp_f32_e32 v3, v3
	v_mul_f32_e32 v3, 0x5f7ffffc, v3
	v_mul_f32_e32 v4, 0x2f800000, v3
	v_trunc_f32_e32 v4, v4
	v_mac_f32_e32 v3, 0xcf800000, v4
	v_cvt_u32_f32_e32 v4, v4
	v_cvt_u32_f32_e32 v3, v3
	v_readfirstlane_b32 s47, v4
	v_readfirstlane_b32 s50, v3
	s_mul_i32 s51, s0, s47
	s_mul_hi_u32 s54, s0, s50
	s_mul_i32 s53, s1, s50
	s_add_i32 s51, s54, s51
	s_mul_i32 s55, s0, s50
	s_add_i32 s51, s51, s53
	s_mul_hi_u32 s53, s50, s51
	s_mul_i32 s54, s50, s51
	s_mul_hi_u32 s50, s50, s55
	s_add_u32 s50, s50, s54
	s_addc_u32 s53, 0, s53
	s_mul_hi_u32 s56, s47, s55
	s_mul_i32 s55, s47, s55
	s_add_u32 s50, s50, s55
	s_mul_hi_u32 s54, s47, s51
	s_addc_u32 s50, s53, s56
	s_addc_u32 s53, s54, 0
	s_mul_i32 s51, s47, s51
	s_add_u32 s50, s50, s51
	s_addc_u32 s51, 0, s53
	v_add_co_u32_e32 v3, vcc, s50, v3
	s_cmp_lg_u64 vcc, 0
	s_addc_u32 s47, s47, s51
	v_readfirstlane_b32 s51, v3
	s_mul_i32 s50, s0, s47
	s_mul_hi_u32 s53, s0, s51
	s_add_i32 s50, s53, s50
	s_mul_i32 s1, s1, s51
	s_add_i32 s50, s50, s1
	s_mul_i32 s0, s0, s51
	s_mul_hi_u32 s53, s47, s0
	s_mul_i32 s54, s47, s0
	s_mul_i32 s56, s51, s50
	s_mul_hi_u32 s0, s51, s0
	s_mul_hi_u32 s55, s51, s50
	s_add_u32 s0, s0, s56
	s_addc_u32 s51, 0, s55
	s_add_u32 s0, s0, s54
	s_mul_hi_u32 s1, s47, s50
	s_addc_u32 s0, s51, s53
	s_addc_u32 s1, s1, 0
	s_mul_i32 s50, s47, s50
	s_add_u32 s0, s0, s50
	s_addc_u32 s1, 0, s1
	v_add_co_u32_e32 v3, vcc, s0, v3
	s_cmp_lg_u64 vcc, 0
	s_addc_u32 s0, s47, s1
	v_readfirstlane_b32 s50, v3
	s_mul_i32 s47, s24, s0
	s_mul_hi_u32 s51, s24, s50
	s_mul_hi_u32 s1, s24, s0
	s_add_u32 s47, s51, s47
	s_addc_u32 s1, 0, s1
	s_mul_hi_u32 s53, s25, s50
	s_mul_i32 s50, s25, s50
	s_add_u32 s47, s47, s50
	s_mul_hi_u32 s51, s25, s0
	s_addc_u32 s1, s1, s53
	s_addc_u32 s47, s51, 0
	s_mul_i32 s0, s25, s0
	s_add_u32 s50, s1, s0
	s_addc_u32 s47, 0, s47
	s_mul_i32 s0, s48, s47
	s_mul_hi_u32 s1, s48, s50
	s_add_i32 s0, s1, s0
	s_mul_i32 s1, s49, s50
	s_add_i32 s51, s0, s1
	s_mul_i32 s1, s48, s50
	v_mov_b32_e32 v3, s1
	s_sub_i32 s0, s25, s51
	v_sub_co_u32_e32 v3, vcc, s24, v3
	s_cmp_lg_u64 vcc, 0
	s_subb_u32 s53, s0, s49
	v_subrev_co_u32_e64 v4, s[0:1], s48, v3
	s_cmp_lg_u64 s[0:1], 0
	s_subb_u32 s0, s53, 0
	s_cmp_ge_u32 s0, s49
	v_readfirstlane_b32 s53, v4
	s_cselect_b32 s1, -1, 0
	s_cmp_ge_u32 s53, s48
	s_cselect_b32 s53, -1, 0
	s_cmp_eq_u32 s0, s49
	s_cselect_b32 s0, s53, s1
	s_add_u32 s1, s50, 1
	s_addc_u32 s53, s47, 0
	s_add_u32 s54, s50, 2
	s_addc_u32 s55, s47, 0
	s_cmp_lg_u32 s0, 0
	s_cselect_b32 s0, s54, s1
	s_cselect_b32 s1, s55, s53
	s_cmp_lg_u64 vcc, 0
	s_subb_u32 s51, s25, s51
	s_cmp_ge_u32 s51, s49
	v_readfirstlane_b32 s54, v3
	s_cselect_b32 s53, -1, 0
	s_cmp_ge_u32 s54, s48
	s_cselect_b32 s54, -1, 0
	s_cmp_eq_u32 s51, s49
	s_cselect_b32 s51, s54, s53
	s_cmp_lg_u32 s51, 0
	s_cselect_b32 s1, s1, s47
	s_cselect_b32 s0, s0, s50
	s_cbranch_execnz .LBB0_7
.LBB0_6:                                ;   in Loop: Header=BB0_4 Depth=1
	v_cvt_f32_u32_e32 v3, s48
	s_sub_i32 s0, 0, s48
	v_rcp_iflag_f32_e32 v3, v3
	v_mul_f32_e32 v3, 0x4f7ffffe, v3
	v_cvt_u32_f32_e32 v3, v3
	v_readfirstlane_b32 s1, v3
	s_mul_i32 s0, s0, s1
	s_mul_hi_u32 s0, s1, s0
	s_add_i32 s1, s1, s0
	s_mul_hi_u32 s0, s24, s1
	s_mul_i32 s47, s0, s48
	s_sub_i32 s47, s24, s47
	s_add_i32 s1, s0, 1
	s_sub_i32 s50, s47, s48
	s_cmp_ge_u32 s47, s48
	s_cselect_b32 s0, s1, s0
	s_cselect_b32 s47, s50, s47
	s_add_i32 s1, s0, 1
	s_cmp_ge_u32 s47, s48
	s_cselect_b32 s0, s1, s0
	s_mov_b32 s1, s46
.LBB0_7:                                ;   in Loop: Header=BB0_4 Depth=1
	s_mul_i32 s37, s48, s37
	s_mul_hi_u32 s47, s48, s36
	s_add_i32 s37, s47, s37
	s_mul_i32 s47, s49, s36
	s_add_i32 s37, s37, s47
	s_mul_i32 s47, s0, s49
	s_mul_hi_u32 s49, s0, s48
	s_load_dwordx2 s[50:51], s[40:41], 0x0
	s_add_i32 s47, s49, s47
	s_mul_i32 s49, s1, s48
	s_mul_i32 s36, s48, s36
	s_add_i32 s47, s47, s49
	s_mul_i32 s48, s0, s48
	s_sub_u32 s48, s24, s48
	s_subb_u32 s47, s25, s47
	s_waitcnt lgkmcnt(0)
	s_mul_i32 s24, s50, s47
	s_mul_hi_u32 s25, s50, s48
	s_add_i32 s49, s25, s24
	s_load_dwordx2 s[24:25], s[38:39], 0x0
	s_mul_i32 s51, s51, s48
	s_add_i32 s49, s49, s51
	s_mul_i32 s50, s50, s48
	s_add_u32 s34, s50, s34
	s_addc_u32 s35, s49, s35
	s_waitcnt lgkmcnt(0)
	s_mul_i32 s47, s24, s47
	s_mul_hi_u32 s49, s24, s48
	s_add_i32 s47, s49, s47
	s_mul_i32 s25, s25, s48
	s_add_i32 s47, s47, s25
	s_mul_i32 s24, s24, s48
	s_add_u32 s4, s24, s4
	s_addc_u32 s5, s47, s5
	s_add_u32 s44, s44, 1
	s_addc_u32 s45, s45, 0
	;; [unrolled: 2-line block ×4, first 2 shown]
	v_cmp_ge_u64_e32 vcc, s[44:45], v[1:2]
	s_add_u32 s42, s42, 8
	s_addc_u32 s43, s43, 0
	s_cbranch_vccnz .LBB0_10
; %bb.8:                                ;   in Loop: Header=BB0_4 Depth=1
	s_mov_b64 s[24:25], s[0:1]
	s_branch .LBB0_4
.LBB0_9:                                ;   in Loop: Header=BB0_4 Depth=1
                                        ; implicit-def: $sgpr0_sgpr1
	s_branch .LBB0_6
.LBB0_10:
	v_mov_b32_e32 v1, s36
	v_mov_b32_e32 v2, s37
	v_cmp_lt_u64_e32 vcc, s[6:7], v[1:2]
	s_mov_b64 s[24:25], 0
	s_cbranch_vccnz .LBB0_12
; %bb.11:
	v_cvt_f32_u32_e32 v1, s36
	s_sub_i32 s0, 0, s36
	v_rcp_iflag_f32_e32 v1, v1
	v_mul_f32_e32 v1, 0x4f7ffffe, v1
	v_cvt_u32_f32_e32 v1, v1
	v_readfirstlane_b32 s1, v1
	s_mul_i32 s0, s0, s1
	s_mul_hi_u32 s0, s1, s0
	s_add_i32 s1, s1, s0
	s_mul_hi_u32 s0, s6, s1
	s_mul_i32 s7, s0, s36
	s_sub_i32 s6, s6, s7
	s_add_i32 s1, s0, 1
	s_sub_i32 s7, s6, s36
	s_cmp_ge_u32 s6, s36
	s_cselect_b32 s0, s1, s0
	s_cselect_b32 s6, s7, s6
	s_add_i32 s1, s0, 1
	s_cmp_ge_u32 s6, s36
	s_cselect_b32 s24, s1, s0
.LBB0_12:
	s_lshl_b64 s[36:37], s[18:19], 3
	s_add_u32 s6, s30, s36
	s_addc_u32 s7, s31, s37
	s_add_u32 s0, s52, 9
	v_mov_b32_e32 v1, s28
	s_addc_u32 s1, s33, 0
	v_mov_b32_e32 v2, s29
	v_cmp_le_u64_e32 vcc, s[0:1], v[1:2]
	v_mul_u32_u24_e32 v1, 0x1c72, v0
	v_lshrrev_b32_e32 v194, 16, v1
	v_mul_lo_u16_e32 v1, 9, v194
	v_sub_u16_e32 v199, v0, v1
	v_mov_b32_e32 v2, s33
	v_add_co_u32_e64 v1, s[0:1], s52, v199
	v_addc_co_u32_e64 v2, s[0:1], 0, v2, s[0:1]
	v_cmp_gt_u64_e64 s[0:1], s[28:29], v[1:2]
	v_lshlrev_b32_e32 v200, 4, v194
	s_or_b64 s[0:1], vcc, s[0:1]
	v_add_u32_e32 v198, 16, v194
	v_or_b32_e32 v197, 32, v194
	v_add_u32_e32 v196, 48, v194
	v_or_b32_e32 v195, 64, v194
	s_and_saveexec_b64 s[18:19], s[0:1]
	s_cbranch_execz .LBB0_14
; %bb.13:
	s_add_u32 s2, s2, s36
	s_addc_u32 s3, s3, s37
	s_load_dwordx2 s[2:3], s[2:3], 0x0
	v_mad_u64_u32 v[1:2], s[28:29], s22, v199, 0
	v_mad_u64_u32 v[3:4], s[28:29], s20, v194, 0
	s_waitcnt lgkmcnt(0)
	s_mul_i32 s3, s3, s24
	s_mul_hi_u32 s25, s2, s24
	s_add_i32 s3, s25, s3
	s_mul_i32 s2, s2, s24
	v_mad_u64_u32 v[5:6], s[22:23], s23, v199, v[2:3]
	v_mov_b32_e32 v2, v4
	s_lshl_b64 s[2:3], s[2:3], 4
	v_mad_u64_u32 v[6:7], s[22:23], s21, v194, v[2:3]
	s_add_u32 s12, s12, s2
	s_addc_u32 s13, s13, s3
	s_lshl_b64 s[2:3], s[34:35], 4
	s_add_u32 s12, s12, s2
	s_addc_u32 s2, s13, s3
	v_mov_b32_e32 v2, v5
	v_mov_b32_e32 v4, v6
	v_mov_b32_e32 v7, s2
	v_mad_u64_u32 v[5:6], s[2:3], s20, v198, 0
	v_lshlrev_b64 v[1:2], 4, v[1:2]
	v_mad_u64_u32 v[11:12], s[2:3], s20, v197, 0
	v_add_co_u32_e32 v56, vcc, s12, v1
	v_addc_co_u32_e32 v57, vcc, v7, v2, vcc
	v_lshlrev_b64 v[1:2], 4, v[3:4]
	v_mov_b32_e32 v3, v6
	v_mad_u64_u32 v[3:4], s[2:3], s21, v198, v[3:4]
	v_add_co_u32_e32 v9, vcc, v56, v1
	v_mov_b32_e32 v6, v3
	v_addc_co_u32_e32 v10, vcc, v57, v2, vcc
	v_lshlrev_b64 v[1:2], 4, v[5:6]
	v_mad_u64_u32 v[15:16], s[2:3], s20, v196, 0
	v_add_co_u32_e32 v13, vcc, v56, v1
	v_mov_b32_e32 v1, v12
	v_mad_u64_u32 v[17:18], s[2:3], s21, v197, v[1:2]
	v_mov_b32_e32 v1, v16
	v_mad_u64_u32 v[18:19], s[2:3], s21, v196, v[1:2]
	v_mov_b32_e32 v12, v17
	v_addc_co_u32_e32 v14, vcc, v57, v2, vcc
	global_load_dwordx4 v[1:4], v[9:10], off
	global_load_dwordx4 v[5:8], v[13:14], off
	v_lshlrev_b64 v[9:10], 4, v[11:12]
	v_mad_u64_u32 v[21:22], s[2:3], s20, v195, 0
	v_add_co_u32_e32 v17, vcc, v56, v9
	v_mov_b32_e32 v16, v18
	v_addc_co_u32_e32 v18, vcc, v57, v10, vcc
	v_add_u32_e32 v10, 0x50, v194
	v_mad_u64_u32 v[23:24], s[2:3], s20, v10, 0
	v_mov_b32_e32 v9, v22
	v_mad_u64_u32 v[25:26], s[2:3], s21, v195, v[9:10]
	v_lshlrev_b64 v[11:12], 4, v[15:16]
	v_mov_b32_e32 v9, v24
	v_mad_u64_u32 v[26:27], s[2:3], s21, v10, v[9:10]
	v_add_co_u32_e32 v19, vcc, v56, v11
	v_mov_b32_e32 v22, v25
	v_addc_co_u32_e32 v20, vcc, v57, v12, vcc
	global_load_dwordx4 v[9:12], v[17:18], off
	global_load_dwordx4 v[13:16], v[19:20], off
	v_lshlrev_b64 v[17:18], 4, v[21:22]
	v_or_b32_e32 v19, 0x60, v194
	v_mad_u64_u32 v[27:28], s[2:3], s20, v19, 0
	v_mov_b32_e32 v24, v26
	v_add_co_u32_e32 v25, vcc, v56, v17
	v_addc_co_u32_e32 v26, vcc, v57, v18, vcc
	v_lshlrev_b64 v[17:18], 4, v[23:24]
	v_add_u32_e32 v34, 0x70, v194
	v_add_co_u32_e32 v29, vcc, v56, v17
	v_mov_b32_e32 v17, v28
	v_mad_u64_u32 v[31:32], s[2:3], s21, v19, v[17:18]
	v_mad_u64_u32 v[32:33], s[2:3], s20, v34, 0
	v_mov_b32_e32 v28, v31
	v_addc_co_u32_e32 v30, vcc, v57, v18, vcc
	global_load_dwordx4 v[17:20], v[25:26], off
	global_load_dwordx4 v[21:24], v[29:30], off
	v_lshlrev_b64 v[25:26], 4, v[27:28]
	v_mov_b32_e32 v27, v33
	v_mad_u64_u32 v[27:28], s[2:3], s21, v34, v[27:28]
	v_add_co_u32_e32 v34, vcc, v56, v25
	v_mov_b32_e32 v33, v27
	v_or_b32_e32 v27, 0x80, v194
	v_mad_u64_u32 v[36:37], s[2:3], s20, v27, 0
	v_addc_co_u32_e32 v35, vcc, v57, v26, vcc
	v_lshlrev_b64 v[25:26], 4, v[32:33]
	v_add_u32_e32 v43, 0x90, v194
	v_add_co_u32_e32 v38, vcc, v56, v25
	v_mov_b32_e32 v25, v37
	v_mad_u64_u32 v[40:41], s[2:3], s21, v27, v[25:26]
	v_mad_u64_u32 v[41:42], s[2:3], s20, v43, 0
	v_addc_co_u32_e32 v39, vcc, v57, v26, vcc
	global_load_dwordx4 v[25:28], v[34:35], off
	global_load_dwordx4 v[29:32], v[38:39], off
	v_mov_b32_e32 v37, v40
	v_mov_b32_e32 v35, v42
	v_lshlrev_b64 v[33:34], 4, v[36:37]
	v_mad_u64_u32 v[35:36], s[2:3], s21, v43, v[35:36]
	v_add_co_u32_e32 v43, vcc, v56, v33
	v_mov_b32_e32 v42, v35
	v_or_b32_e32 v35, 0xa0, v194
	v_addc_co_u32_e32 v44, vcc, v57, v34, vcc
	v_lshlrev_b64 v[33:34], 4, v[41:42]
	v_mad_u64_u32 v[41:42], s[2:3], s20, v35, 0
	v_add_co_u32_e32 v45, vcc, v56, v33
	v_mov_b32_e32 v33, v42
	v_mad_u64_u32 v[47:48], s[2:3], s21, v35, v[33:34]
	v_add_u32_e32 v50, 0xb0, v194
	v_mad_u64_u32 v[48:49], s[2:3], s20, v50, 0
	v_addc_co_u32_e32 v46, vcc, v57, v34, vcc
	global_load_dwordx4 v[33:36], v[43:44], off
	global_load_dwordx4 v[37:40], v[45:46], off
	v_mov_b32_e32 v43, v49
	v_mad_u64_u32 v[43:44], s[2:3], s21, v50, v[43:44]
	v_or_b32_e32 v46, 0xc0, v194
	v_mad_u64_u32 v[44:45], s[2:3], s20, v46, 0
	v_mov_b32_e32 v42, v47
	v_lshlrev_b64 v[41:42], 4, v[41:42]
	v_mov_b32_e32 v49, v43
	v_mov_b32_e32 v43, v45
	v_add_co_u32_e32 v50, vcc, v56, v41
	v_mad_u64_u32 v[45:46], s[2:3], s21, v46, v[43:44]
	v_addc_co_u32_e32 v51, vcc, v57, v42, vcc
	v_lshlrev_b64 v[41:42], 4, v[48:49]
	v_lshlrev_b64 v[54:55], 4, v[44:45]
	v_add_co_u32_e32 v52, vcc, v56, v41
	v_addc_co_u32_e32 v53, vcc, v57, v42, vcc
	global_load_dwordx4 v[41:44], v[50:51], off
	global_load_dwordx4 v[45:48], v[52:53], off
	v_add_co_u32_e32 v49, vcc, v56, v54
	v_addc_co_u32_e32 v50, vcc, v57, v55, vcc
	global_load_dwordx4 v[49:52], v[49:50], off
	v_mul_u32_u24_e32 v53, 0xd00, v199
	v_add3_u32 v53, 0, v53, v200
	s_waitcnt vmcnt(12)
	ds_write_b128 v53, v[1:4]
	s_waitcnt vmcnt(11)
	ds_write_b128 v53, v[5:8] offset:256
	s_waitcnt vmcnt(10)
	ds_write_b128 v53, v[9:12] offset:512
	;; [unrolled: 2-line block ×12, first 2 shown]
.LBB0_14:
	s_or_b64 exec, exec, s[18:19]
	s_add_u32 s2, 0, 0x71c4fc00
	s_addc_u32 s3, 0, 0x7c
	s_add_i32 s3, s3, 0x1c71c6a0
	s_mul_hi_u32 s19, s2, -9
	s_sub_i32 s19, s19, s2
	s_mul_i32 s20, s3, -9
	s_mul_i32 s12, s2, -9
	s_add_i32 s19, s19, s20
	s_mul_hi_u32 s13, s3, s12
	s_mul_i32 s18, s3, s12
	s_mul_i32 s21, s2, s19
	s_mul_hi_u32 s12, s2, s12
	s_mul_hi_u32 s20, s2, s19
	s_add_u32 s12, s12, s21
	s_addc_u32 s20, 0, s20
	s_add_u32 s12, s12, s18
	s_mul_hi_u32 s21, s3, s19
	s_addc_u32 s12, s20, s13
	v_lshrrev_b32_e32 v1, 4, v0
	s_addc_u32 s13, s21, 0
	s_mul_i32 s18, s3, s19
	v_mov_b32_e32 v2, s33
	v_add_co_u32_e32 v164, vcc, s52, v1
	s_add_u32 s12, s12, s18
	v_addc_co_u32_e32 v5, vcc, 0, v2, vcc
	v_mov_b32_e32 v1, s12
	s_addc_u32 s13, 0, s13
	v_add_co_u32_e32 v3, vcc, s2, v1
	s_cmp_lg_u64 vcc, 0
	s_addc_u32 s12, s3, s13
	v_mad_u64_u32 v[1:2], s[2:3], v164, s12, 0
	v_mul_hi_u32 v4, v164, v3
	v_and_b32_e32 v64, 15, v0
	s_mov_b32 s38, 0x42a4c3d2
	s_mov_b32 s44, 0x66966769
	v_add_co_u32_e32 v6, vcc, v4, v1
	v_addc_co_u32_e32 v7, vcc, 0, v2, vcc
	v_mad_u64_u32 v[1:2], s[2:3], v5, v3, 0
	v_mad_u64_u32 v[3:4], s[2:3], v5, s12, 0
	v_add_co_u32_e32 v1, vcc, v6, v1
	v_addc_co_u32_e32 v1, vcc, v7, v2, vcc
	v_addc_co_u32_e32 v2, vcc, 0, v4, vcc
	v_add_co_u32_e32 v1, vcc, v1, v3
	v_addc_co_u32_e32 v3, vcc, 0, v2, vcc
	v_mad_u64_u32 v[1:2], s[2:3], v1, 9, 0
	s_load_dwordx2 s[2:3], s[6:7], 0x0
	s_waitcnt lgkmcnt(0)
	v_mad_u64_u32 v[2:3], s[6:7], v3, 9, v[2:3]
	v_sub_co_u32_e32 v1, vcc, v164, v1
	v_subb_co_u32_e32 v2, vcc, v5, v2, vcc
	v_subrev_co_u32_e32 v3, vcc, 9, v1
	v_subbrev_co_u32_e32 v4, vcc, 0, v2, vcc
	v_cmp_lt_u32_e32 vcc, 8, v3
	v_cndmask_b32_e64 v5, 0, -1, vcc
	v_cmp_eq_u32_e32 vcc, 0, v4
	v_cndmask_b32_e32 v4, -1, v5, vcc
	v_add_u32_e32 v5, -9, v3
	v_cmp_ne_u32_e32 vcc, 0, v4
	v_cndmask_b32_e32 v3, v3, v5, vcc
	v_cmp_lt_u32_e32 vcc, 8, v1
	v_cndmask_b32_e64 v4, 0, -1, vcc
	v_cmp_eq_u32_e32 vcc, 0, v2
	v_cndmask_b32_e32 v2, -1, v4, vcc
	v_cmp_ne_u32_e32 vcc, 0, v2
	v_cndmask_b32_e32 v1, v1, v3, vcc
	v_mul_u32_u24_e32 v1, 0xd0, v1
	v_lshlrev_b32_e32 v0, 4, v1
	v_add_u32_e32 v65, 0, v0
	v_lshlrev_b32_e32 v1, 4, v64
	v_add_u32_e32 v202, v65, v1
	s_barrier
	v_add3_u32 v201, 0, v1, v0
	ds_read_b128 v[4:7], v202
	ds_read_b128 v[0:3], v201 offset:256
	ds_read_b128 v[8:11], v201 offset:512
	;; [unrolled: 1-line block ×3, first 2 shown]
	s_mov_b32 s22, 0x2ef20147
	s_mov_b32 s34, 0x24c2f84
	;; [unrolled: 1-line block ×3, first 2 shown]
	s_waitcnt lgkmcnt(2)
	v_add_f64 v[16:17], v[4:5], v[0:1]
	v_add_f64 v[18:19], v[6:7], v[2:3]
	s_mov_b32 s31, 0xbfddbe06
	s_mov_b32 s30, 0x4267c47c
	;; [unrolled: 1-line block ×6, first 2 shown]
	s_waitcnt lgkmcnt(1)
	v_add_f64 v[16:17], v[16:17], v[8:9]
	v_add_f64 v[18:19], v[18:19], v[10:11]
	s_mov_b32 s41, 0xbfcea1e5
	s_mov_b32 s20, 0xe00740e9
	;; [unrolled: 1-line block ×6, first 2 shown]
	s_waitcnt lgkmcnt(0)
	v_add_f64 v[20:21], v[16:17], v[12:13]
	v_add_f64 v[22:23], v[18:19], v[14:15]
	ds_read_b128 v[16:19], v201 offset:1024
	ds_read_b128 v[28:31], v201 offset:1280
	;; [unrolled: 1-line block ×9, first 2 shown]
	s_mov_b32 s36, 0x93053d00
	s_waitcnt lgkmcnt(8)
	v_add_f64 v[20:21], v[20:21], v[16:17]
	v_add_f64 v[22:23], v[22:23], v[18:19]
	s_waitcnt lgkmcnt(5)
	v_add_f64 v[58:59], v[60:61], v[66:67]
	s_waitcnt lgkmcnt(0)
	v_add_f64 v[72:73], v[2:3], -v[34:35]
	v_add_f64 v[70:71], v[0:1], -v[32:33]
	v_add_f64 v[56:57], v[62:63], v[68:69]
	s_mov_b32 s21, 0x3fec55a7
	s_mov_b32 s19, 0x3fe22d96
	v_add_f64 v[20:21], v[20:21], v[28:29]
	v_add_f64 v[22:23], v[22:23], v[30:31]
	s_mov_b32 s7, 0x3fbedb7d
	s_mov_b32 s13, 0xbfd6b1d8
	;; [unrolled: 1-line block ×4, first 2 shown]
	v_add_f64 v[48:49], v[28:29], v[52:53]
	v_add_f64 v[50:51], v[30:31], v[54:55]
	;; [unrolled: 1-line block ×4, first 2 shown]
	v_add_f64 v[60:61], v[60:61], -v[66:67]
	v_add_f64 v[62:63], v[62:63], -v[68:69]
	v_mul_f64 v[78:79], v[70:71], s[30:31]
	v_mul_f64 v[82:83], v[70:71], s[38:39]
	;; [unrolled: 1-line block ×4, first 2 shown]
	v_add_f64 v[20:21], v[20:21], v[66:67]
	v_add_f64 v[22:23], v[22:23], v[68:69]
	v_mul_f64 v[66:67], v[72:73], s[22:23]
	v_mul_f64 v[68:69], v[72:73], s[34:35]
	s_mov_b32 s47, 0x3fe5384d
	s_mov_b32 s46, s34
	;; [unrolled: 1-line block ×4, first 2 shown]
	v_add_f64 v[20:21], v[20:21], v[52:53]
	v_add_f64 v[22:23], v[22:23], v[54:55]
	v_add_f64 v[52:53], v[28:29], -v[52:53]
	v_add_f64 v[54:55], v[30:31], -v[54:55]
	s_mov_b32 s49, 0x3fedeba7
	s_mov_b32 s48, s22
	v_cmp_gt_u32_e32 vcc, 13, v64
	v_add_f64 v[20:21], v[20:21], v[44:45]
	v_add_f64 v[22:23], v[22:23], v[46:47]
	v_mul_f64 v[116:117], v[52:53], s[34:35]
	v_mul_f64 v[114:115], v[54:55], s[34:35]
	s_barrier
	s_waitcnt lgkmcnt(0)
                                        ; implicit-def: $vgpr158_vgpr159
                                        ; implicit-def: $vgpr146_vgpr147
                                        ; implicit-def: $vgpr190_vgpr191
	v_add_f64 v[40:41], v[20:21], v[36:37]
	v_add_f64 v[42:43], v[22:23], v[38:39]
	v_add_f64 v[20:21], v[8:9], v[24:25]
	v_add_f64 v[22:23], v[10:11], v[26:27]
	v_add_f64 v[40:41], v[40:41], v[24:25]
	v_add_f64 v[42:43], v[42:43], v[26:27]
	v_add_f64 v[24:25], v[8:9], -v[24:25]
	v_add_f64 v[26:27], v[10:11], -v[26:27]
	v_add_f64 v[8:9], v[0:1], v[32:33]
	v_add_f64 v[10:11], v[2:3], v[34:35]
	;; [unrolled: 1-line block ×6, first 2 shown]
	v_add_f64 v[36:37], v[12:13], -v[36:37]
	v_add_f64 v[38:39], v[14:15], -v[38:39]
	v_add_f64 v[42:43], v[18:19], v[46:47]
	v_add_f64 v[46:47], v[18:19], -v[46:47]
	v_mul_f64 v[12:13], v[72:73], s[30:31]
	v_mul_f64 v[14:15], v[72:73], s[38:39]
	;; [unrolled: 1-line block ×4, first 2 shown]
	v_add_f64 v[40:41], v[16:17], v[44:45]
	v_add_f64 v[44:45], v[16:17], -v[44:45]
	v_fma_f64 v[74:75], v[8:9], s[12:13], -v[66:67]
	v_fma_f64 v[66:67], v[8:9], s[12:13], v[66:67]
	v_fma_f64 v[16:17], v[8:9], s[20:21], -v[12:13]
	v_fma_f64 v[12:13], v[8:9], s[20:21], v[12:13]
	;; [unrolled: 2-line block ×6, first 2 shown]
	v_mul_f64 v[72:73], v[70:71], s[44:45]
	v_fma_f64 v[84:85], v[10:11], s[20:21], v[78:79]
	v_mul_f64 v[70:71], v[70:71], s[40:41]
	v_fma_f64 v[90:91], v[10:11], s[18:19], v[82:83]
	v_fma_f64 v[78:79], v[10:11], s[20:21], -v[78:79]
	v_fma_f64 v[82:83], v[10:11], s[18:19], -v[82:83]
	v_fma_f64 v[94:95], v[10:11], s[12:13], v[86:87]
	v_fma_f64 v[86:87], v[10:11], s[12:13], -v[86:87]
	v_fma_f64 v[92:93], v[10:11], s[6:7], v[72:73]
	;; [unrolled: 2-line block ×4, first 2 shown]
	v_fma_f64 v[10:11], v[10:11], s[36:37], -v[70:71]
	v_add_f64 v[70:71], v[6:7], v[84:85]
	v_add_f64 v[84:85], v[6:7], v[90:91]
	;; [unrolled: 1-line block ×3, first 2 shown]
	v_mul_f64 v[92:93], v[26:27], s[38:39]
	v_add_f64 v[16:17], v[4:5], v[16:17]
	v_mul_f64 v[100:101], v[24:25], s[38:39]
	v_add_f64 v[102:103], v[6:7], v[86:87]
	v_mul_f64 v[106:107], v[38:39], s[44:45]
	v_mul_f64 v[108:109], v[36:37], s[44:45]
	;; [unrolled: 1-line block ×3, first 2 shown]
	v_add_f64 v[12:13], v[4:5], v[12:13]
	v_fma_f64 v[86:87], v[20:21], s[18:19], -v[92:93]
	v_add_f64 v[78:79], v[6:7], v[78:79]
	v_fma_f64 v[104:105], v[22:23], s[18:19], v[100:101]
	v_mul_f64 v[112:113], v[44:45], s[22:23]
	v_fma_f64 v[92:93], v[20:21], s[18:19], v[92:93]
	v_fma_f64 v[100:101], v[22:23], s[18:19], -v[100:101]
	v_add_f64 v[28:29], v[4:5], v[28:29]
	v_add_f64 v[14:15], v[4:5], v[14:15]
	;; [unrolled: 1-line block ×3, first 2 shown]
	v_fma_f64 v[86:87], v[32:33], s[6:7], -v[106:107]
	v_add_f64 v[70:71], v[104:105], v[70:71]
	v_fma_f64 v[104:105], v[34:35], s[6:7], v[108:109]
	v_add_f64 v[12:13], v[92:93], v[12:13]
	v_add_f64 v[78:79], v[100:101], v[78:79]
	v_fma_f64 v[92:93], v[32:33], s[6:7], v[106:107]
	v_fma_f64 v[100:101], v[34:35], s[6:7], -v[108:109]
	v_add_f64 v[82:83], v[6:7], v[82:83]
	v_add_f64 v[16:17], v[86:87], v[16:17]
	v_fma_f64 v[86:87], v[40:41], s[12:13], -v[110:111]
	v_add_f64 v[70:71], v[104:105], v[70:71]
	v_fma_f64 v[104:105], v[42:43], s[12:13], v[112:113]
	v_add_f64 v[30:31], v[4:5], v[30:31]
	v_add_f64 v[18:19], v[4:5], v[18:19]
	;; [unrolled: 1-line block ×6, first 2 shown]
	v_fma_f64 v[86:87], v[48:49], s[28:29], -v[114:115]
	v_add_f64 v[66:67], v[4:5], v[66:67]
	v_add_f64 v[76:77], v[4:5], v[76:77]
	;; [unrolled: 1-line block ×8, first 2 shown]
	v_fma_f64 v[104:105], v[50:51], s[28:29], v[116:117]
	v_add_f64 v[106:107], v[4:5], v[8:9]
	v_add_f64 v[108:109], v[6:7], v[10:11]
	;; [unrolled: 1-line block ×4, first 2 shown]
	v_fma_f64 v[8:9], v[40:41], s[12:13], v[110:111]
	v_fma_f64 v[10:11], v[42:43], s[12:13], -v[112:113]
	v_add_f64 v[12:13], v[86:87], v[16:17]
	v_mul_f64 v[86:87], v[26:27], s[22:23]
	v_mul_f64 v[92:93], v[24:25], s[22:23]
	v_add_f64 v[16:17], v[104:105], v[70:71]
	v_mul_f64 v[70:71], v[62:63], s[40:41]
	v_mul_f64 v[78:79], v[60:61], s[40:41]
	v_add_f64 v[4:5], v[8:9], v[4:5]
	v_add_f64 v[6:7], v[10:11], v[6:7]
	v_fma_f64 v[8:9], v[48:49], s[28:29], v[114:115]
	v_fma_f64 v[10:11], v[50:51], s[28:29], -v[116:117]
	v_fma_f64 v[110:111], v[20:21], s[12:13], -v[86:87]
	v_fma_f64 v[112:113], v[22:23], s[12:13], v[92:93]
	v_mul_f64 v[114:115], v[38:39], s[40:41]
	v_mul_f64 v[116:117], v[36:37], s[40:41]
	v_fma_f64 v[100:101], v[58:59], s[36:37], -v[70:71]
	v_fma_f64 v[104:105], v[56:57], s[36:37], v[78:79]
	v_add_f64 v[8:9], v[8:9], v[4:5]
	v_add_f64 v[10:11], v[10:11], v[6:7]
	v_fma_f64 v[70:71], v[58:59], s[36:37], v[70:71]
	v_fma_f64 v[78:79], v[56:57], s[36:37], -v[78:79]
	v_add_f64 v[28:29], v[110:111], v[28:29]
	v_add_f64 v[84:85], v[112:113], v[84:85]
	v_fma_f64 v[110:111], v[32:33], s[36:37], -v[114:115]
	v_fma_f64 v[112:113], v[34:35], s[36:37], v[116:117]
	v_mul_f64 v[118:119], v[46:47], s[46:47]
	v_add_f64 v[4:5], v[100:101], v[12:13]
	v_add_f64 v[6:7], v[104:105], v[16:17]
	v_mul_f64 v[12:13], v[44:45], s[46:47]
	v_add_f64 v[8:9], v[70:71], v[8:9]
	v_add_f64 v[10:11], v[78:79], v[10:11]
	;; [unrolled: 1-line block ×4, first 2 shown]
	v_fma_f64 v[70:71], v[40:41], s[28:29], -v[118:119]
	v_fma_f64 v[78:79], v[20:21], s[12:13], v[86:87]
	v_fma_f64 v[84:85], v[22:23], s[12:13], -v[92:93]
	v_mul_f64 v[92:93], v[54:55], s[42:43]
	v_fma_f64 v[86:87], v[42:43], s[28:29], v[12:13]
	v_mul_f64 v[100:101], v[52:53], s[42:43]
	s_mov_b32 s31, 0x3fddbe06
	v_mul_f64 v[104:105], v[62:63], s[30:31]
	v_add_f64 v[16:17], v[70:71], v[16:17]
	v_add_f64 v[14:15], v[78:79], v[14:15]
	;; [unrolled: 1-line block ×3, first 2 shown]
	v_fma_f64 v[78:79], v[32:33], s[36:37], v[114:115]
	v_fma_f64 v[82:83], v[34:35], s[36:37], -v[116:117]
	v_fma_f64 v[84:85], v[48:49], s[6:7], -v[92:93]
	v_add_f64 v[28:29], v[86:87], v[28:29]
	v_fma_f64 v[86:87], v[50:51], s[6:7], v[100:101]
	v_mul_f64 v[110:111], v[60:61], s[30:31]
	v_fma_f64 v[12:13], v[42:43], s[28:29], -v[12:13]
	v_fma_f64 v[92:93], v[48:49], s[6:7], v[92:93]
	v_add_f64 v[14:15], v[78:79], v[14:15]
	v_add_f64 v[70:71], v[82:83], v[70:71]
	v_fma_f64 v[78:79], v[40:41], s[28:29], v[118:119]
	v_add_f64 v[16:17], v[84:85], v[16:17]
	v_mul_f64 v[82:83], v[26:27], s[40:41]
	v_mul_f64 v[84:85], v[24:25], s[40:41]
	v_add_f64 v[28:29], v[86:87], v[28:29]
	v_fma_f64 v[86:87], v[58:59], s[20:21], -v[104:105]
	v_fma_f64 v[112:113], v[56:57], s[20:21], v[110:111]
	v_add_f64 v[70:71], v[12:13], v[70:71]
	v_add_f64 v[78:79], v[78:79], v[14:15]
	v_fma_f64 v[100:101], v[50:51], s[6:7], -v[100:101]
	v_fma_f64 v[114:115], v[20:21], s[36:37], -v[82:83]
	v_fma_f64 v[116:117], v[22:23], s[36:37], v[84:85]
	v_mul_f64 v[118:119], v[38:39], s[48:49]
	v_mul_f64 v[120:121], v[36:37], s[48:49]
	v_add_f64 v[12:13], v[86:87], v[16:17]
	v_add_f64 v[14:15], v[112:113], v[28:29]
	;; [unrolled: 1-line block ×6, first 2 shown]
	v_fma_f64 v[78:79], v[32:33], s[12:13], -v[118:119]
	v_fma_f64 v[86:87], v[34:35], s[12:13], v[120:121]
	v_mul_f64 v[90:91], v[46:47], s[30:31]
	v_mul_f64 v[92:93], v[44:45], s[30:31]
	v_fma_f64 v[82:83], v[20:21], s[36:37], v[82:83]
	v_fma_f64 v[84:85], v[22:23], s[36:37], -v[84:85]
	v_fma_f64 v[100:101], v[58:59], s[20:21], v[104:105]
	v_fma_f64 v[104:105], v[56:57], s[20:21], -v[110:111]
	v_add_f64 v[30:31], v[78:79], v[30:31]
	v_add_f64 v[70:71], v[86:87], v[70:71]
	v_fma_f64 v[78:79], v[40:41], s[20:21], -v[90:91]
	v_fma_f64 v[86:87], v[42:43], s[20:21], v[92:93]
	v_mul_f64 v[110:111], v[54:55], s[38:39]
	v_mul_f64 v[112:113], v[52:53], s[38:39]
	v_add_f64 v[18:19], v[82:83], v[18:19]
	v_add_f64 v[72:73], v[84:85], v[72:73]
	v_fma_f64 v[82:83], v[32:33], s[12:13], v[118:119]
	v_fma_f64 v[114:115], v[34:35], s[12:13], -v[120:121]
	v_add_f64 v[30:31], v[78:79], v[30:31]
	v_add_f64 v[70:71], v[86:87], v[70:71]
	v_fma_f64 v[78:79], v[48:49], s[18:19], -v[110:111]
	v_fma_f64 v[116:117], v[50:51], s[18:19], v[112:113]
	v_add_f64 v[84:85], v[100:101], v[16:17]
	v_add_f64 v[86:87], v[104:105], v[28:29]
	;; [unrolled: 1-line block ×4, first 2 shown]
	v_fma_f64 v[28:29], v[40:41], s[20:21], v[90:91]
	v_fma_f64 v[72:73], v[42:43], s[20:21], -v[92:93]
	v_mul_f64 v[90:91], v[26:27], s[46:47]
	v_mul_f64 v[92:93], v[24:25], s[46:47]
	v_add_f64 v[30:31], v[78:79], v[30:31]
	v_add_f64 v[70:71], v[116:117], v[70:71]
	v_mul_f64 v[78:79], v[62:63], s[34:35]
	v_mul_f64 v[82:83], v[60:61], s[34:35]
	v_add_f64 v[16:17], v[28:29], v[16:17]
	v_add_f64 v[18:19], v[72:73], v[18:19]
	v_fma_f64 v[28:29], v[48:49], s[18:19], v[110:111]
	v_fma_f64 v[72:73], v[50:51], s[18:19], -v[112:113]
	v_fma_f64 v[110:111], v[20:21], s[28:29], -v[90:91]
	v_fma_f64 v[112:113], v[22:23], s[28:29], v[92:93]
	v_mul_f64 v[114:115], v[38:39], s[30:31]
	v_mul_f64 v[116:117], v[36:37], s[30:31]
	v_fma_f64 v[100:101], v[58:59], s[28:29], -v[78:79]
	v_fma_f64 v[104:105], v[56:57], s[28:29], v[82:83]
	v_add_f64 v[16:17], v[28:29], v[16:17]
	v_add_f64 v[18:19], v[72:73], v[18:19]
	v_fma_f64 v[28:29], v[58:59], s[28:29], v[78:79]
	v_fma_f64 v[78:79], v[56:57], s[28:29], -v[82:83]
	v_add_f64 v[82:83], v[110:111], v[74:75]
	v_add_f64 v[94:95], v[112:113], v[94:95]
	v_fma_f64 v[110:111], v[32:33], s[20:21], -v[114:115]
	v_fma_f64 v[112:113], v[34:35], s[20:21], v[116:117]
	v_mul_f64 v[118:119], v[46:47], s[44:45]
	v_mul_f64 v[120:121], v[44:45], s[44:45]
	s_mov_b32 s45, 0x3fcea1e5
	s_mov_b32 s44, s40
	v_add_f64 v[72:73], v[100:101], v[30:31]
	v_add_f64 v[74:75], v[104:105], v[70:71]
	;; [unrolled: 1-line block ×6, first 2 shown]
	v_fma_f64 v[70:71], v[40:41], s[6:7], -v[118:119]
	v_fma_f64 v[78:79], v[42:43], s[6:7], v[120:121]
	v_fma_f64 v[82:83], v[20:21], s[28:29], v[90:91]
	v_fma_f64 v[90:91], v[22:23], s[28:29], -v[92:93]
	v_mul_f64 v[92:93], v[54:55], s[44:45]
	v_mul_f64 v[94:95], v[52:53], s[44:45]
	s_mov_b32 s41, 0x3fea55e2
	s_mov_b32 s40, s38
	v_add_f64 v[28:29], v[70:71], v[28:29]
	v_add_f64 v[30:31], v[78:79], v[30:31]
	;; [unrolled: 1-line block ×4, first 2 shown]
	v_fma_f64 v[78:79], v[32:33], s[20:21], v[114:115]
	v_fma_f64 v[82:83], v[34:35], s[20:21], -v[116:117]
	v_fma_f64 v[90:91], v[48:49], s[36:37], -v[92:93]
	v_fma_f64 v[100:101], v[50:51], s[36:37], v[94:95]
	v_mul_f64 v[102:103], v[62:63], s[40:41]
	v_mul_f64 v[104:105], v[60:61], s[40:41]
	;; [unrolled: 1-line block ×4, first 2 shown]
	v_add_f64 v[66:67], v[78:79], v[66:67]
	v_add_f64 v[70:71], v[82:83], v[70:71]
	v_fma_f64 v[78:79], v[40:41], s[6:7], v[118:119]
	v_fma_f64 v[82:83], v[42:43], s[6:7], -v[120:121]
	v_add_f64 v[28:29], v[90:91], v[28:29]
	v_add_f64 v[30:31], v[100:101], v[30:31]
	v_mul_f64 v[90:91], v[26:27], s[42:43]
	v_mul_f64 v[100:101], v[24:25], s[42:43]
	v_fma_f64 v[110:111], v[58:59], s[18:19], -v[102:103]
	v_fma_f64 v[112:113], v[56:57], s[18:19], v[104:105]
	v_add_f64 v[66:67], v[78:79], v[66:67]
	v_add_f64 v[70:71], v[82:83], v[70:71]
	v_fma_f64 v[78:79], v[48:49], s[36:37], v[92:93]
	v_fma_f64 v[82:83], v[50:51], s[36:37], -v[94:95]
	v_fma_f64 v[92:93], v[20:21], s[6:7], -v[90:91]
	v_fma_f64 v[94:95], v[22:23], s[6:7], v[100:101]
	v_fma_f64 v[90:91], v[20:21], s[6:7], v[90:91]
	;; [unrolled: 1-line block ×3, first 2 shown]
	v_fma_f64 v[104:105], v[56:57], s[18:19], -v[104:105]
	v_fma_f64 v[100:101], v[22:23], s[6:7], -v[100:101]
	v_add_f64 v[66:67], v[78:79], v[66:67]
	v_add_f64 v[70:71], v[82:83], v[70:71]
	v_fma_f64 v[82:83], v[32:33], s[18:19], -v[114:115]
	v_add_f64 v[78:79], v[94:95], v[96:97]
	v_mul_f64 v[94:95], v[46:47], s[44:45]
	v_add_f64 v[68:69], v[90:91], v[68:69]
	v_fma_f64 v[114:115], v[32:33], s[18:19], v[114:115]
	v_add_f64 v[28:29], v[110:111], v[28:29]
	v_mul_f64 v[110:111], v[54:55], s[30:31]
	v_add_f64 v[100:101], v[100:101], v[88:89]
	v_add_f64 v[88:89], v[102:103], v[66:67]
	;; [unrolled: 1-line block ×3, first 2 shown]
	v_fma_f64 v[70:71], v[40:41], s[36:37], v[94:95]
	v_mul_f64 v[26:27], v[26:27], s[30:31]
	v_add_f64 v[66:67], v[114:115], v[68:69]
	v_mul_f64 v[24:25], v[24:25], s[30:31]
	v_add_f64 v[76:77], v[92:93], v[76:77]
	v_fma_f64 v[92:93], v[34:35], s[18:19], v[116:117]
	v_mul_f64 v[96:97], v[44:45], s[44:45]
	v_mul_f64 v[38:39], v[38:39], s[34:35]
	;; [unrolled: 1-line block ×3, first 2 shown]
	v_fma_f64 v[102:103], v[20:21], s[20:21], -v[26:27]
	v_add_f64 v[66:67], v[70:71], v[66:67]
	v_fma_f64 v[70:71], v[48:49], s[20:21], v[110:111]
	v_fma_f64 v[104:105], v[22:23], s[20:21], v[24:25]
	v_fma_f64 v[20:21], v[20:21], s[20:21], v[26:27]
	v_fma_f64 v[22:23], v[22:23], s[20:21], -v[24:25]
	v_add_f64 v[30:31], v[112:113], v[30:31]
	v_add_f64 v[76:77], v[82:83], v[76:77]
	;; [unrolled: 1-line block ×3, first 2 shown]
	v_fma_f64 v[82:83], v[40:41], s[36:37], -v[94:95]
	v_fma_f64 v[92:93], v[42:43], s[36:37], v[96:97]
	v_mul_f64 v[112:113], v[52:53], s[30:31]
	v_fma_f64 v[116:117], v[34:35], s[18:19], -v[116:117]
	v_add_f64 v[66:67], v[70:71], v[66:67]
	v_add_f64 v[24:25], v[102:103], v[80:81]
	v_add_f64 v[26:27], v[104:105], v[98:99]
	v_fma_f64 v[70:71], v[32:33], s[28:29], -v[38:39]
	v_fma_f64 v[80:81], v[34:35], s[28:29], v[36:37]
	v_mul_f64 v[46:47], v[46:47], s[40:41]
	v_mul_f64 v[44:45], v[44:45], s[40:41]
	v_add_f64 v[20:21], v[20:21], v[106:107]
	v_add_f64 v[22:23], v[22:23], v[108:109]
	v_fma_f64 v[32:33], v[32:33], s[28:29], v[38:39]
	v_fma_f64 v[34:35], v[34:35], s[28:29], -v[36:37]
	v_add_f64 v[76:77], v[82:83], v[76:77]
	v_add_f64 v[78:79], v[92:93], v[78:79]
	v_fma_f64 v[82:83], v[48:49], s[20:21], -v[110:111]
	v_fma_f64 v[92:93], v[50:51], s[20:21], v[112:113]
	v_add_f64 v[68:69], v[116:117], v[100:101]
	v_fma_f64 v[94:95], v[42:43], s[36:37], -v[96:97]
	v_add_f64 v[24:25], v[70:71], v[24:25]
	v_add_f64 v[26:27], v[80:81], v[26:27]
	v_fma_f64 v[36:37], v[40:41], s[18:19], -v[46:47]
	v_fma_f64 v[38:39], v[42:43], s[18:19], v[44:45]
	v_mul_f64 v[54:55], v[54:55], s[22:23]
	v_mul_f64 v[52:53], v[52:53], s[22:23]
	v_add_f64 v[20:21], v[32:33], v[20:21]
	v_add_f64 v[22:23], v[34:35], v[22:23]
	v_fma_f64 v[32:33], v[40:41], s[18:19], v[46:47]
	v_fma_f64 v[34:35], v[42:43], s[18:19], -v[44:45]
	v_add_f64 v[76:77], v[82:83], v[76:77]
	v_add_f64 v[78:79], v[92:93], v[78:79]
	v_mul_f64 v[82:83], v[62:63], s[22:23]
	v_mul_f64 v[92:93], v[60:61], s[22:23]
	v_add_f64 v[68:69], v[94:95], v[68:69]
	v_fma_f64 v[94:95], v[50:51], s[20:21], -v[112:113]
	v_add_f64 v[24:25], v[36:37], v[24:25]
	v_add_f64 v[26:27], v[38:39], v[26:27]
	v_fma_f64 v[36:37], v[48:49], s[12:13], -v[54:55]
	v_fma_f64 v[38:39], v[50:51], s[12:13], v[52:53]
	v_mul_f64 v[40:41], v[62:63], s[42:43]
	v_mul_f64 v[42:43], v[60:61], s[42:43]
	v_add_f64 v[20:21], v[32:33], v[20:21]
	v_add_f64 v[22:23], v[34:35], v[22:23]
	v_fma_f64 v[32:33], v[48:49], s[12:13], v[54:55]
	v_fma_f64 v[34:35], v[50:51], s[12:13], -v[52:53]
	v_fma_f64 v[96:97], v[58:59], s[12:13], -v[82:83]
	v_fma_f64 v[100:101], v[56:57], s[12:13], v[92:93]
	v_add_f64 v[68:69], v[94:95], v[68:69]
	v_fma_f64 v[44:45], v[58:59], s[12:13], v[82:83]
	v_fma_f64 v[46:47], v[56:57], s[12:13], -v[92:93]
	v_add_f64 v[24:25], v[36:37], v[24:25]
	v_add_f64 v[26:27], v[38:39], v[26:27]
	v_fma_f64 v[36:37], v[58:59], s[6:7], -v[40:41]
	v_fma_f64 v[38:39], v[56:57], s[6:7], v[42:43]
	v_add_f64 v[20:21], v[32:33], v[20:21]
	v_add_f64 v[22:23], v[34:35], v[22:23]
	v_fma_f64 v[32:33], v[58:59], s[6:7], v[40:41]
	v_fma_f64 v[34:35], v[56:57], s[6:7], -v[42:43]
	v_add_f64 v[116:117], v[96:97], v[76:77]
	v_add_f64 v[118:119], v[100:101], v[78:79]
	;; [unrolled: 1-line block ×8, first 2 shown]
	s_movk_i32 s6, 0xd0
	v_mad_u32_u24 v20, v64, s6, v65
	ds_write_b128 v20, v[0:3]
	ds_write_b128 v20, v[4:7] offset:16
	ds_write_b128 v20, v[12:15] offset:32
	;; [unrolled: 1-line block ×12, first 2 shown]
	s_waitcnt lgkmcnt(0)
	s_barrier
	s_and_saveexec_b64 s[6:7], vcc
	s_cbranch_execz .LBB0_16
; %bb.15:
	ds_read_b128 v[0:3], v202
	ds_read_b128 v[4:7], v201 offset:208
	ds_read_b128 v[12:15], v201 offset:416
	;; [unrolled: 1-line block ×15, first 2 shown]
.LBB0_16:
	s_or_b64 exec, exec, s[6:7]
	v_add_u32_e32 v20, -13, v64
	v_cndmask_b32_e32 v192, v20, v64, vcc
	v_mul_lo_u32 v20, v164, v192
	v_add_u32_e32 v21, 13, v192
	v_mul_lo_u32 v33, v164, v21
	v_mov_b32_e32 v165, 4
	v_mov_b32_e32 v166, 0x1000
	v_lshlrev_b32_sdwa v32, v165, v20 dst_sel:DWORD dst_unused:UNUSED_PAD src0_sel:DWORD src1_sel:BYTE_0
	v_bfe_u32 v20, v20, 8, 8
	v_lshl_or_b32 v34, v20, 4, v166
	global_load_dwordx4 v[20:23], v32, s[16:17]
	global_load_dwordx4 v[24:27], v34, s[16:17]
	v_lshlrev_b32_sdwa v40, v165, v33 dst_sel:DWORD dst_unused:UNUSED_PAD src0_sel:DWORD src1_sel:BYTE_0
	v_bfe_u32 v32, v33, 8, 8
	v_add_u32_e32 v33, 26, v192
	v_mul_lo_u32 v41, v164, v33
	v_lshl_or_b32 v42, v32, 4, v166
	global_load_dwordx4 v[32:35], v40, s[16:17]
	global_load_dwordx4 v[36:39], v42, s[16:17]
	v_add_u32_e32 v150, 0xa9, v192
	v_lshlrev_b32_sdwa v48, v165, v41 dst_sel:DWORD dst_unused:UNUSED_PAD src0_sel:DWORD src1_sel:BYTE_0
	v_bfe_u32 v40, v41, 8, 8
	v_add_u32_e32 v41, 39, v192
	v_mul_lo_u32 v49, v164, v41
	v_lshl_or_b32 v50, v40, 4, v166
	global_load_dwordx4 v[40:43], v48, s[16:17]
	global_load_dwordx4 v[44:47], v50, s[16:17]
	v_mul_lo_u32 v167, v164, v150
	v_lshlrev_b32_sdwa v56, v165, v49 dst_sel:DWORD dst_unused:UNUSED_PAD src0_sel:DWORD src1_sel:BYTE_0
	v_bfe_u32 v48, v49, 8, 8
	v_add_u32_e32 v49, 52, v192
	v_mul_lo_u32 v57, v164, v49
	v_lshl_or_b32 v58, v48, 4, v166
	global_load_dwordx4 v[48:51], v56, s[16:17]
	global_load_dwordx4 v[52:55], v58, s[16:17]
	v_lshlrev_b32_sdwa v168, v165, v167 dst_sel:DWORD dst_unused:UNUSED_PAD src0_sel:DWORD src1_sel:BYTE_0
	v_lshlrev_b32_sdwa v64, v165, v57 dst_sel:DWORD dst_unused:UNUSED_PAD src0_sel:DWORD src1_sel:BYTE_0
	v_bfe_u32 v56, v57, 8, 8
	v_add_u32_e32 v57, 0x41, v192
	v_mul_lo_u32 v65, v164, v57
	v_lshl_or_b32 v66, v56, 4, v166
	global_load_dwordx4 v[56:59], v64, s[16:17]
	global_load_dwordx4 v[60:63], v66, s[16:17]
	v_bfe_u32 v167, v167, 8, 8
	v_bfe_u32 v64, v65, 8, 8
	v_lshlrev_b32_sdwa v76, v165, v65 dst_sel:DWORD dst_unused:UNUSED_PAD src0_sel:DWORD src1_sel:BYTE_0
	v_add_u32_e32 v65, 0x4e, v192
	v_lshl_or_b32 v78, v64, 4, v166
	v_mul_lo_u32 v77, v164, v65
	global_load_dwordx4 v[64:67], v76, s[16:17]
	global_load_dwordx4 v[68:71], v78, s[16:17]
	v_add_u32_e32 v78, 0x5b, v192
	v_add_u32_e32 v102, 0x68, v192
	;; [unrolled: 1-line block ×7, first 2 shown]
	v_lshl_or_b32 v170, v167, 4, v166
	v_add_u32_e32 v167, 0xc3, v192
	v_mul_lo_u32 v100, v164, v78
	v_mul_lo_u32 v108, v164, v102
	;; [unrolled: 1-line block ×8, first 2 shown]
	v_lshlrev_b32_sdwa v76, v165, v77 dst_sel:DWORD dst_unused:UNUSED_PAD src0_sel:DWORD src1_sel:BYTE_0
	v_bfe_u32 v77, v77, 8, 8
	v_lshlrev_b32_sdwa v101, v165, v100 dst_sel:DWORD dst_unused:UNUSED_PAD src0_sel:DWORD src1_sel:BYTE_0
	v_bfe_u32 v100, v100, 8, 8
	;; [unrolled: 2-line block ×7, first 2 shown]
	v_bfe_u32 v167, v169, 8, 8
	v_lshlrev_b32_sdwa v180, v165, v164 dst_sel:DWORD dst_unused:UNUSED_PAD src0_sel:DWORD src1_sel:BYTE_0
	v_bfe_u32 v164, v164, 8, 8
	v_lshl_or_b32 v80, v77, 4, v166
	v_lshl_or_b32 v104, v100, 4, v166
	;; [unrolled: 1-line block ×7, first 2 shown]
	v_lshlrev_b32_sdwa v172, v165, v169 dst_sel:DWORD dst_unused:UNUSED_PAD src0_sel:DWORD src1_sel:BYTE_0
	v_lshl_or_b32 v176, v167, 4, v166
	v_lshl_or_b32 v184, v164, 4, v166
	global_load_dwordx4 v[76:79], v76, s[16:17]
	s_nop 0
	global_load_dwordx4 v[80:83], v80, s[16:17]
	s_nop 0
	;; [unrolled: 2-line block ×19, first 2 shown]
	global_load_dwordx4 v[184:187], v184, s[16:17]
	s_waitcnt vmcnt(0) lgkmcnt(0)
	s_barrier
	s_and_saveexec_b64 s[6:7], vcc
	s_cbranch_execz .LBB0_18
; %bb.17:
	v_mul_i32_i24_e32 v192, 15, v192
	v_mov_b32_e32 v193, 0
	v_lshlrev_b64 v[192:193], 4, v[192:193]
	v_mov_b32_e32 v203, s27
	v_add_co_u32_e32 v192, vcc, s26, v192
	v_addc_co_u32_e32 v193, vcc, v203, v193, vcc
	global_load_dwordx4 v[203:206], v[192:193], off offset:32
	global_load_dwordx4 v[207:210], v[192:193], off offset:160
	;; [unrolled: 1-line block ×4, first 2 shown]
	global_load_dwordx4 v[219:222], v[192:193], off
	global_load_dwordx4 v[223:226], v[192:193], off offset:128
	global_load_dwordx4 v[227:230], v[192:193], off offset:64
	;; [unrolled: 1-line block ×5, first 2 shown]
	s_mov_b32 s16, 0x667f3bcd
	s_mov_b32 s17, 0x3fe6a09e
	;; [unrolled: 1-line block ×12, first 2 shown]
	s_waitcnt vmcnt(9)
	v_mul_f64 v[243:244], v[74:75], v[205:206]
	v_mul_f64 v[205:206], v[72:73], v[205:206]
	s_waitcnt vmcnt(8)
	v_mul_f64 v[245:246], v[86:87], v[209:210]
	v_mul_f64 v[209:210], v[84:85], v[209:210]
	v_fma_f64 v[243:244], v[72:73], v[203:204], -v[243:244]
	v_fma_f64 v[247:248], v[74:75], v[203:204], v[205:206]
	global_load_dwordx4 v[72:75], v[192:193], off offset:80
	s_waitcnt vmcnt(8)
	v_mul_f64 v[203:204], v[160:161], v[213:214]
	v_mul_f64 v[205:206], v[162:163], v[213:214]
	v_fma_f64 v[213:214], v[84:85], v[207:208], -v[245:246]
	v_fma_f64 v[207:208], v[86:87], v[207:208], v[209:210]
	s_waitcnt vmcnt(7)
	v_mul_f64 v[209:210], v[188:189], v[217:218]
	v_mul_f64 v[217:218], v[190:191], v[217:218]
	global_load_dwordx4 v[84:87], v[192:193], off offset:208
	v_fma_f64 v[245:246], v[162:163], v[211:212], v[203:204]
	v_fma_f64 v[211:212], v[160:161], v[211:212], -v[205:206]
	global_load_dwordx4 v[160:163], v[192:193], off offset:48
	global_load_dwordx4 v[203:206], v[192:193], off offset:176
	v_fma_f64 v[209:210], v[190:191], v[215:216], v[209:210]
	v_fma_f64 v[215:216], v[188:189], v[215:216], -v[217:218]
	global_load_dwordx4 v[188:191], v[192:193], off offset:112
	s_waitcnt vmcnt(10)
	v_mul_f64 v[192:193], v[6:7], v[221:222]
	v_mul_f64 v[217:218], v[4:5], v[221:222]
	s_waitcnt vmcnt(9)
	v_mul_f64 v[221:222], v[90:91], v[225:226]
	v_fma_f64 v[4:5], v[4:5], v[219:220], -v[192:193]
	v_mul_f64 v[192:193], v[88:89], v[225:226]
	v_fma_f64 v[6:7], v[6:7], v[219:220], v[217:218]
	s_waitcnt vmcnt(8)
	v_mul_f64 v[219:220], v[116:117], v[229:230]
	v_mul_f64 v[225:226], v[118:119], v[229:230]
	v_fma_f64 v[88:89], v[88:89], v[223:224], -v[221:222]
	s_waitcnt vmcnt(7)
	v_mul_f64 v[221:222], v[158:159], v[233:234]
	s_waitcnt vmcnt(5)
	v_mul_f64 v[229:230], v[18:19], v[241:242]
	v_mul_f64 v[217:218], v[182:183], v[186:187]
	v_fma_f64 v[90:91], v[90:91], v[223:224], v[192:193]
	v_mul_f64 v[192:193], v[156:157], v[233:234]
	v_mul_f64 v[223:224], v[14:15], v[237:238]
	v_fma_f64 v[118:119], v[118:119], v[227:228], v[219:220]
	v_fma_f64 v[116:117], v[116:117], v[227:228], -v[225:226]
	v_mul_f64 v[227:228], v[12:13], v[237:238]
	v_mul_f64 v[233:234], v[16:17], v[241:242]
	v_fma_f64 v[156:157], v[156:157], v[231:232], -v[221:222]
	v_fma_f64 v[16:17], v[16:17], v[239:240], -v[229:230]
	v_fma_f64 v[158:159], v[158:159], v[231:232], v[192:193]
	v_fma_f64 v[12:13], v[12:13], v[235:236], -v[223:224]
	v_add_f64 v[90:91], v[6:7], -v[90:91]
	v_add_f64 v[88:89], v[4:5], -v[88:89]
	v_fma_f64 v[14:15], v[14:15], v[235:236], v[227:228]
	v_fma_f64 v[18:19], v[18:19], v[239:240], v[233:234]
	v_add_f64 v[16:17], v[12:13], -v[16:17]
	v_add_f64 v[18:19], v[14:15], -v[18:19]
	v_fma_f64 v[12:13], v[12:13], 2.0, -v[16:17]
	s_waitcnt vmcnt(4)
	v_mul_f64 v[219:220], v[92:93], v[74:75]
	v_mul_f64 v[74:75], v[94:95], v[74:75]
	s_waitcnt vmcnt(3)
	v_mul_f64 v[225:226], v[144:145], v[86:87]
	v_mul_f64 v[86:87], v[146:147], v[86:87]
	v_fma_f64 v[94:95], v[94:95], v[72:73], v[219:220]
	s_waitcnt vmcnt(2)
	v_mul_f64 v[192:193], v[30:31], v[162:163]
	s_waitcnt vmcnt(1)
	v_mul_f64 v[221:222], v[10:11], v[205:206]
	v_mul_f64 v[162:163], v[28:29], v[162:163]
	;; [unrolled: 1-line block ×3, first 2 shown]
	v_fma_f64 v[72:73], v[92:93], v[72:73], -v[74:75]
	s_waitcnt vmcnt(0)
	v_mul_f64 v[223:224], v[96:97], v[190:191]
	v_mul_f64 v[190:191], v[98:99], v[190:191]
	v_fma_f64 v[146:147], v[146:147], v[84:85], v[225:226]
	v_fma_f64 v[74:75], v[144:145], v[84:85], -v[86:87]
	v_fma_f64 v[28:29], v[28:29], v[160:161], -v[192:193]
	;; [unrolled: 1-line block ×3, first 2 shown]
	v_fma_f64 v[30:31], v[30:31], v[160:161], v[162:163]
	v_fma_f64 v[10:11], v[10:11], v[203:204], v[205:206]
	;; [unrolled: 1-line block ×3, first 2 shown]
	v_fma_f64 v[86:87], v[96:97], v[188:189], -v[190:191]
	v_add_f64 v[96:97], v[247:248], -v[207:208]
	v_add_f64 v[98:99], v[211:212], -v[215:216]
	;; [unrolled: 1-line block ×11, first 2 shown]
	v_add_f64 v[160:161], v[96:97], v[98:99]
	v_add_f64 v[162:163], v[90:91], v[144:145]
	;; [unrolled: 1-line block ×4, first 2 shown]
	v_add_f64 v[10:11], v[30:31], -v[10:11]
	v_add_f64 v[203:204], v[88:89], -v[92:93]
	;; [unrolled: 1-line block ×4, first 2 shown]
	v_fma_f64 v[192:193], v[180:181], v[184:185], -v[217:218]
	v_fma_f64 v[209:210], v[160:161], s[16:17], v[162:163]
	v_fma_f64 v[217:218], v[4:5], 2.0, -v[88:89]
	v_fma_f64 v[213:214], v[188:189], s[16:17], v[190:191]
	v_add_f64 v[215:216], v[86:87], -v[10:11]
	v_fma_f64 v[4:5], v[116:117], 2.0, -v[144:145]
	v_fma_f64 v[144:145], v[245:246], 2.0, -v[158:159]
	v_fma_f64 v[158:159], v[205:206], s[16:17], v[203:204]
	v_fma_f64 v[219:220], v[6:7], 2.0, -v[90:91]
	v_fma_f64 v[209:210], v[205:206], s[16:17], v[209:210]
	;; [unrolled: 2-line block ×3, first 2 shown]
	v_fma_f64 v[118:119], v[207:208], s[16:17], v[215:216]
	v_fma_f64 v[116:117], v[247:248], 2.0, -v[96:97]
	v_fma_f64 v[92:93], v[243:244], 2.0, -v[156:157]
	;; [unrolled: 1-line block ×3, first 2 shown]
	v_fma_f64 v[158:159], v[160:161], s[12:13], v[158:159]
	v_fma_f64 v[72:73], v[72:73], 2.0, -v[74:75]
	v_fma_f64 v[74:75], v[2:3], 2.0, -v[84:85]
	v_fma_f64 v[211:212], v[209:210], s[20:21], v[213:214]
	v_fma_f64 v[2:3], v[30:31], 2.0, -v[10:11]
	v_fma_f64 v[10:11], v[0:1], 2.0, -v[86:87]
	;; [unrolled: 1-line block ×4, first 2 shown]
	v_fma_f64 v[28:29], v[188:189], s[12:13], v[118:119]
	v_fma_f64 v[14:15], v[94:95], 2.0, -v[146:147]
	v_add_f64 v[94:95], v[217:218], -v[4:5]
	v_fma_f64 v[30:31], v[158:159], s[18:19], v[211:212]
	v_add_f64 v[118:119], v[116:117], -v[144:145]
	v_add_f64 v[144:145], v[219:220], -v[6:7]
	;; [unrolled: 1-line block ×7, first 2 shown]
	v_fma_f64 v[0:1], v[158:159], s[20:21], v[28:29]
	v_mul_f64 v[2:3], v[180:181], v[186:187]
	v_add_f64 v[180:181], v[94:95], -v[118:119]
	v_add_f64 v[186:187], v[144:145], v[98:99]
	v_fma_f64 v[90:91], v[90:91], 2.0, -v[162:163]
	v_add_f64 v[221:222], v[146:147], v[72:73]
	v_fma_f64 v[84:85], v[84:85], 2.0, -v[190:191]
	v_add_f64 v[223:224], v[211:212], -v[14:15]
	v_fma_f64 v[225:226], v[209:210], s[22:23], v[0:1]
	v_fma_f64 v[0:1], v[182:183], v[184:185], v[2:3]
	v_fma_f64 v[2:3], v[96:97], 2.0, -v[160:161]
	v_fma_f64 v[4:5], v[18:19], 2.0, -v[188:189]
	v_mul_f64 v[96:97], v[172:173], v[178:179]
	v_fma_f64 v[6:7], v[186:187], s[16:17], v[221:222]
	v_fma_f64 v[88:89], v[88:89], 2.0, -v[203:204]
	v_fma_f64 v[18:19], v[180:181], s[16:17], v[223:224]
	v_fma_f64 v[156:157], v[156:157], 2.0, -v[205:206]
	v_fma_f64 v[16:17], v[16:17], 2.0, -v[207:208]
	v_fma_f64 v[160:161], v[2:3], s[12:13], v[90:91]
	v_fma_f64 v[182:183], v[4:5], s[12:13], v[84:85]
	v_fma_f64 v[86:87], v[86:87], 2.0, -v[215:216]
	v_fma_f64 v[184:185], v[180:181], s[16:17], v[6:7]
	v_mul_f64 v[6:7], v[174:175], v[178:179]
	v_fma_f64 v[178:179], v[186:187], s[12:13], v[18:19]
	v_fma_f64 v[18:19], v[174:175], v[176:177], v[96:97]
	v_fma_f64 v[96:97], v[156:157], s[12:13], v[88:89]
	v_fma_f64 v[156:157], v[156:157], s[16:17], v[160:161]
	v_fma_f64 v[160:161], v[16:17], s[16:17], v[182:183]
	v_fma_f64 v[16:17], v[16:17], s[12:13], v[86:87]
	v_mul_f64 v[174:175], v[225:226], v[0:1]
	v_fma_f64 v[172:173], v[172:173], v[176:177], -v[6:7]
	v_fma_f64 v[92:93], v[92:93], 2.0, -v[98:99]
	v_mul_f64 v[6:7], v[178:179], v[18:19]
	v_mul_f64 v[18:19], v[184:185], v[18:19]
	v_fma_f64 v[96:97], v[2:3], s[12:13], v[96:97]
	v_fma_f64 v[176:177], v[156:157], s[18:19], v[160:161]
	;; [unrolled: 1-line block ×3, first 2 shown]
	v_mul_f64 v[16:17], v[166:167], v[170:171]
	v_mul_f64 v[170:171], v[164:165], v[170:171]
	v_fma_f64 v[2:3], v[30:31], v[192:193], v[174:175]
	v_fma_f64 v[6:7], v[184:185], v[172:173], v[6:7]
	v_fma_f64 v[4:5], v[178:179], v[172:173], -v[18:19]
	v_fma_f64 v[174:175], v[10:11], 2.0, -v[211:212]
	v_fma_f64 v[172:173], v[96:97], s[20:21], v[176:177]
	v_fma_f64 v[18:19], v[96:97], s[18:19], v[182:183]
	v_fma_f64 v[10:11], v[12:13], 2.0, -v[72:73]
	v_fma_f64 v[72:73], v[219:220], 2.0, -v[144:145]
	;; [unrolled: 1-line block ×7, first 2 shown]
	v_fma_f64 v[116:117], v[156:157], s[26:27], v[18:19]
	v_fma_f64 v[18:19], v[166:167], v[168:169], v[170:171]
	v_add_f64 v[98:99], v[174:175], -v[10:11]
	v_add_f64 v[166:167], v[72:73], -v[12:13]
	v_mul_f64 v[10:11], v[148:149], v[154:155]
	v_fma_f64 v[12:13], v[164:165], v[168:169], -v[16:17]
	v_fma_f64 v[168:169], v[190:191], 2.0, -v[213:214]
	v_fma_f64 v[170:171], v[215:216], 2.0, -v[28:29]
	v_add_f64 v[164:165], v[74:75], -v[8:9]
	v_mul_f64 v[14:15], v[116:117], v[18:19]
	v_mul_f64 v[16:17], v[172:173], v[18:19]
	;; [unrolled: 1-line block ×3, first 2 shown]
	v_fma_f64 v[150:151], v[150:151], v[152:153], v[10:11]
	v_fma_f64 v[118:119], v[217:218], 2.0, -v[94:95]
	v_fma_f64 v[146:147], v[146:147], 2.0, -v[221:222]
	;; [unrolled: 1-line block ×4, first 2 shown]
	v_fma_f64 v[10:11], v[172:173], v[12:13], v[14:15]
	v_fma_f64 v[8:9], v[116:117], v[12:13], -v[16:17]
	v_fma_f64 v[12:13], v[148:149], v[152:153], -v[18:19]
	v_fma_f64 v[16:17], v[162:163], s[22:23], v[168:169]
	v_mul_f64 v[18:19], v[138:139], v[142:143]
	v_mul_f64 v[142:143], v[136:137], v[142:143]
	v_fma_f64 v[148:149], v[158:159], s[22:23], v[170:171]
	v_fma_f64 v[152:153], v[211:212], 2.0, -v[223:224]
	v_fma_f64 v[88:89], v[88:89], 2.0, -v[96:97]
	v_add_f64 v[92:93], v[118:119], -v[92:93]
	v_fma_f64 v[72:73], v[72:73], 2.0, -v[166:167]
	v_mul_f64 v[0:1], v[30:31], v[0:1]
	v_fma_f64 v[136:137], v[136:137], v[140:141], -v[18:19]
	v_fma_f64 v[138:139], v[138:139], v[140:141], v[142:143]
	v_fma_f64 v[142:143], v[158:159], s[20:21], v[16:17]
	v_mul_f64 v[140:141], v[128:129], v[134:135]
	v_fma_f64 v[158:159], v[84:85], 2.0, -v[160:161]
	v_fma_f64 v[84:85], v[90:91], 2.0, -v[156:157]
	v_fma_f64 v[148:149], v[162:163], s[26:27], v[148:149]
	v_fma_f64 v[16:17], v[144:145], s[12:13], v[146:147]
	;; [unrolled: 1-line block ×3, first 2 shown]
	v_mul_f64 v[134:135], v[130:131], v[134:135]
	v_add_f64 v[176:177], v[164:165], v[92:93]
	v_fma_f64 v[130:131], v[130:131], v[132:133], v[140:141]
	v_fma_f64 v[140:141], v[86:87], 2.0, -v[182:183]
	v_fma_f64 v[96:97], v[84:85], s[26:27], v[158:159]
	v_mul_f64 v[90:91], v[148:149], v[138:139]
	v_fma_f64 v[94:95], v[94:95], s[16:17], v[16:17]
	v_fma_f64 v[144:145], v[144:145], s[12:13], v[18:19]
	v_fma_f64 v[86:87], v[128:129], v[132:133], -v[134:135]
	v_fma_f64 v[132:133], v[74:75], 2.0, -v[164:165]
	v_fma_f64 v[134:135], v[174:175], 2.0, -v[98:99]
	;; [unrolled: 1-line block ×3, first 2 shown]
	v_fma_f64 v[96:97], v[88:89], s[18:19], v[96:97]
	v_fma_f64 v[88:89], v[88:89], s[26:27], v[140:141]
	;; [unrolled: 1-line block ×3, first 2 shown]
	v_mul_f64 v[90:91], v[144:145], v[130:131]
	v_mul_f64 v[128:129], v[94:95], v[130:131]
	;; [unrolled: 1-line block ×6, first 2 shown]
	v_fma_f64 v[88:89], v[84:85], s[22:23], v[88:89]
	v_mul_f64 v[84:85], v[100:101], v[106:107]
	v_add_f64 v[154:155], v[98:99], -v[166:167]
	v_mul_f64 v[138:139], v[142:143], v[138:139]
	v_fma_f64 v[118:119], v[120:121], v[124:125], -v[130:131]
	v_fma_f64 v[120:121], v[122:123], v[124:125], v[126:127]
	v_add_f64 v[122:123], v[134:135], -v[74:75]
	v_fma_f64 v[74:75], v[110:111], v[112:113], v[92:93]
	v_add_f64 v[92:93], v[132:133], -v[72:73]
	v_mul_f64 v[72:73], v[102:103], v[106:107]
	v_fma_f64 v[106:107], v[28:29], 2.0, -v[225:226]
	v_fma_f64 v[102:103], v[102:103], v[104:105], v[84:85]
	v_fma_f64 v[108:109], v[108:109], v[112:113], -v[114:115]
	v_mul_f64 v[84:85], v[88:89], v[120:121]
	v_mul_f64 v[110:111], v[96:97], v[120:121]
	v_mul_f64 v[112:113], v[122:123], v[74:75]
	v_mul_f64 v[114:115], v[92:93], v[74:75]
	v_fma_f64 v[120:121], v[213:214], 2.0, -v[30:31]
	v_fma_f64 v[100:101], v[100:101], v[104:105], -v[72:73]
	v_mul_f64 v[104:105], v[106:107], v[102:103]
	v_fma_f64 v[30:31], v[94:95], v[86:87], v[90:91]
	v_fma_f64 v[28:29], v[144:145], v[86:87], -v[128:129]
	v_fma_f64 v[74:75], v[96:97], v[118:119], v[84:85]
	v_fma_f64 v[86:87], v[92:93], v[108:109], v[112:113]
	v_fma_f64 v[84:85], v[122:123], v[108:109], -v[114:115]
	v_mul_f64 v[108:109], v[76:77], v[82:83]
	v_mul_f64 v[82:83], v[78:79], v[82:83]
	;; [unrolled: 1-line block ×3, first 2 shown]
	v_fma_f64 v[90:91], v[120:121], v[100:101], v[104:105]
	v_mul_f64 v[104:105], v[64:65], v[70:71]
	v_mul_f64 v[70:71], v[66:67], v[70:71]
	;; [unrolled: 1-line block ×3, first 2 shown]
	v_fma_f64 v[112:113], v[223:224], 2.0, -v[178:179]
	v_fma_f64 v[78:79], v[78:79], v[80:81], v[108:109]
	v_fma_f64 v[76:77], v[76:77], v[80:81], -v[82:83]
	v_fma_f64 v[80:81], v[98:99], 2.0, -v[154:155]
	v_fma_f64 v[58:59], v[58:59], v[60:61], v[114:115]
	v_fma_f64 v[108:109], v[182:183], 2.0, -v[116:117]
	v_fma_f64 v[66:67], v[66:67], v[68:69], v[104:105]
	v_fma_f64 v[64:65], v[64:65], v[68:69], -v[70:71]
	v_mul_f64 v[70:71], v[48:49], v[54:55]
	v_fma_f64 v[104:105], v[164:165], 2.0, -v[176:177]
	v_fma_f64 v[62:63], v[56:57], v[60:61], -v[62:63]
	v_mul_f64 v[54:55], v[50:51], v[54:55]
	v_mul_f64 v[60:61], v[80:81], v[58:59]
	v_fma_f64 v[98:99], v[160:161], 2.0, -v[172:173]
	v_mul_f64 v[68:69], v[108:109], v[66:67]
	v_fma_f64 v[72:73], v[88:89], v[118:119], -v[110:111]
	v_fma_f64 v[110:111], v[221:222], 2.0, -v[184:185]
	v_mul_f64 v[58:59], v[104:105], v[58:59]
	v_mul_f64 v[82:83], v[112:113], v[78:79]
	v_fma_f64 v[48:49], v[48:49], v[52:53], -v[54:55]
	v_fma_f64 v[60:61], v[104:105], v[62:63], v[60:61]
	v_mul_f64 v[54:55], v[32:33], v[38:39]
	v_mul_f64 v[104:105], v[20:21], v[26:27]
	v_fma_f64 v[70:71], v[50:51], v[52:53], v[70:71]
	v_fma_f64 v[50:51], v[98:99], v[64:65], v[68:69]
	v_mul_f64 v[66:67], v[98:99], v[66:67]
	v_mul_f64 v[98:99], v[40:41], v[46:47]
	v_mul_f64 v[46:47], v[42:43], v[46:47]
	v_mul_f64 v[38:39], v[34:35], v[38:39]
	v_fma_f64 v[88:89], v[140:141], 2.0, -v[88:89]
	v_fma_f64 v[34:35], v[34:35], v[36:37], v[54:55]
	v_mul_f64 v[26:27], v[22:23], v[26:27]
	v_fma_f64 v[54:55], v[134:135], 2.0, -v[122:123]
	v_fma_f64 v[22:23], v[22:23], v[24:25], v[104:105]
	v_fma_f64 v[92:93], v[132:133], 2.0, -v[92:93]
	v_fma_f64 v[96:97], v[158:159], 2.0, -v[96:97]
	v_fma_f64 v[56:57], v[110:111], v[76:77], v[82:83]
	v_mul_f64 v[78:79], v[110:111], v[78:79]
	v_fma_f64 v[94:95], v[146:147], 2.0, -v[94:95]
	v_fma_f64 v[110:111], v[152:153], 2.0, -v[144:145]
	v_fma_f64 v[42:43], v[42:43], v[44:45], v[98:99]
	v_fma_f64 v[82:83], v[170:171], 2.0, -v[148:149]
	v_fma_f64 v[68:69], v[168:169], 2.0, -v[142:143]
	v_fma_f64 v[40:41], v[40:41], v[44:45], -v[46:47]
	v_fma_f64 v[32:33], v[32:33], v[36:37], -v[38:39]
	v_mul_f64 v[36:37], v[34:35], v[88:89]
	v_fma_f64 v[20:21], v[20:21], v[24:25], -v[26:27]
	v_mul_f64 v[24:25], v[22:23], v[54:55]
	v_mul_f64 v[46:47], v[22:23], v[92:93]
	;; [unrolled: 1-line block ×10, first 2 shown]
	v_fma_f64 v[34:35], v[32:33], v[96:97], v[36:37]
	v_fma_f64 v[38:39], v[20:21], v[92:93], v[24:25]
	v_fma_f64 v[36:37], v[20:21], v[54:55], -v[46:47]
	v_fma_f64 v[32:33], v[32:33], v[88:89], -v[98:99]
	v_fma_f64 v[26:27], v[94:95], v[40:41], v[44:45]
	v_fma_f64 v[24:25], v[110:111], v[40:41], -v[42:43]
	v_fma_f64 v[22:23], v[68:69], v[48:49], v[52:53]
	v_fma_f64 v[20:21], v[82:83], v[48:49], -v[70:71]
	v_fma_f64 v[58:59], v[80:81], v[62:63], -v[58:59]
	;; [unrolled: 1-line block ×6, first 2 shown]
	v_fma_f64 v[14:15], v[176:177], v[12:13], v[14:15]
	v_fma_f64 v[12:13], v[154:155], v[12:13], -v[150:151]
	v_fma_f64 v[16:17], v[148:149], v[136:137], -v[138:139]
	ds_write_b128 v202, v[36:39]
	ds_write_b128 v201, v[32:35] offset:208
	ds_write_b128 v201, v[24:27] offset:416
	;; [unrolled: 1-line block ×15, first 2 shown]
.LBB0_18:
	s_or_b64 exec, exec, s[6:7]
	s_waitcnt lgkmcnt(0)
	s_barrier
	s_and_saveexec_b64 s[6:7], s[0:1]
	s_cbranch_execz .LBB0_20
; %bb.19:
	v_mad_u64_u32 v[4:5], s[6:7], s10, v199, 0
	s_mul_i32 s0, s3, s24
	s_mul_hi_u32 s1, s2, s24
	s_add_i32 s1, s1, s0
	s_mul_i32 s0, s2, s24
	v_mad_u64_u32 v[6:7], s[2:3], s8, v194, 0
	v_mov_b32_e32 v0, v5
	v_mad_u64_u32 v[0:1], s[2:3], s11, v199, v[0:1]
	v_mov_b32_e32 v1, v7
	v_mad_u64_u32 v[1:2], s[2:3], s9, v194, v[1:2]
	s_lshl_b64 s[0:1], s[0:1], 4
	s_add_u32 s2, s14, s0
	v_mov_b32_e32 v5, v0
	s_addc_u32 s3, s15, s1
	s_lshl_b64 s[0:1], s[4:5], 4
	v_mul_u32_u24_e32 v0, 0xd00, v199
	s_add_u32 s0, s2, s0
	v_lshlrev_b64 v[4:5], 4, v[4:5]
	v_add3_u32 v12, 0, v0, v200
	s_addc_u32 s1, s3, s1
	v_mov_b32_e32 v7, v1
	ds_read_b128 v[0:3], v12
	v_mov_b32_e32 v8, s1
	v_add_co_u32_e32 v13, vcc, s0, v4
	v_addc_co_u32_e32 v14, vcc, v8, v5, vcc
	v_lshlrev_b64 v[4:5], 4, v[6:7]
	v_mad_u64_u32 v[8:9], s[0:1], s8, v198, 0
	v_add_co_u32_e32 v10, vcc, v13, v4
	v_addc_co_u32_e32 v11, vcc, v14, v5, vcc
	ds_read_b128 v[4:7], v12 offset:256
	s_waitcnt lgkmcnt(1)
	global_store_dwordx4 v[10:11], v[0:3], off
	v_mad_u64_u32 v[10:11], s[0:1], s8, v197, 0
	v_mov_b32_e32 v0, v9
	v_mad_u64_u32 v[0:1], s[0:1], s9, v198, v[0:1]
	v_mov_b32_e32 v2, v11
	;; [unrolled: 2-line block ×3, first 2 shown]
	v_lshlrev_b64 v[0:1], 4, v[8:9]
	v_mov_b32_e32 v11, v2
	v_add_co_u32_e32 v0, vcc, v13, v0
	v_addc_co_u32_e32 v1, vcc, v14, v1, vcc
	s_waitcnt lgkmcnt(0)
	global_store_dwordx4 v[0:1], v[4:7], off
	ds_read_b128 v[0:3], v12 offset:512
	v_lshlrev_b64 v[4:5], 4, v[10:11]
	v_mad_u64_u32 v[8:9], s[0:1], s8, v196, 0
	v_add_co_u32_e32 v10, vcc, v13, v4
	v_addc_co_u32_e32 v11, vcc, v14, v5, vcc
	ds_read_b128 v[4:7], v12 offset:768
	s_waitcnt lgkmcnt(1)
	global_store_dwordx4 v[10:11], v[0:3], off
	v_mad_u64_u32 v[10:11], s[0:1], s8, v195, 0
	v_mov_b32_e32 v0, v9
	v_mad_u64_u32 v[0:1], s[0:1], s9, v196, v[0:1]
	v_mov_b32_e32 v2, v11
	;; [unrolled: 2-line block ×3, first 2 shown]
	v_lshlrev_b64 v[0:1], 4, v[8:9]
	v_mov_b32_e32 v11, v2
	v_add_co_u32_e32 v0, vcc, v13, v0
	v_addc_co_u32_e32 v1, vcc, v14, v1, vcc
	s_waitcnt lgkmcnt(0)
	global_store_dwordx4 v[0:1], v[4:7], off
	ds_read_b128 v[0:3], v12 offset:1024
	v_add_u32_e32 v15, 0x50, v194
	v_lshlrev_b64 v[4:5], 4, v[10:11]
	v_mad_u64_u32 v[8:9], s[0:1], s8, v15, 0
	v_add_co_u32_e32 v10, vcc, v13, v4
	v_addc_co_u32_e32 v11, vcc, v14, v5, vcc
	ds_read_b128 v[4:7], v12 offset:1280
	s_waitcnt lgkmcnt(1)
	global_store_dwordx4 v[10:11], v[0:3], off
	s_nop 0
	v_mov_b32_e32 v0, v9
	v_or_b32_e32 v3, 0x60, v194
	v_mad_u64_u32 v[0:1], s[0:1], s9, v15, v[0:1]
	v_mad_u64_u32 v[10:11], s[0:1], s8, v3, 0
	v_mov_b32_e32 v9, v0
	v_lshlrev_b64 v[0:1], 4, v[8:9]
	v_mov_b32_e32 v2, v11
	v_mad_u64_u32 v[2:3], s[0:1], s9, v3, v[2:3]
	v_add_co_u32_e32 v0, vcc, v13, v0
	v_addc_co_u32_e32 v1, vcc, v14, v1, vcc
	s_waitcnt lgkmcnt(0)
	global_store_dwordx4 v[0:1], v[4:7], off
	v_mov_b32_e32 v11, v2
	ds_read_b128 v[0:3], v12 offset:1536
	v_add_u32_e32 v15, 0x70, v194
	v_lshlrev_b64 v[4:5], 4, v[10:11]
	v_mad_u64_u32 v[8:9], s[0:1], s8, v15, 0
	v_add_co_u32_e32 v10, vcc, v13, v4
	v_addc_co_u32_e32 v11, vcc, v14, v5, vcc
	ds_read_b128 v[4:7], v12 offset:1792
	s_waitcnt lgkmcnt(1)
	global_store_dwordx4 v[10:11], v[0:3], off
	s_nop 0
	v_mov_b32_e32 v0, v9
	v_or_b32_e32 v3, 0x80, v194
	v_mad_u64_u32 v[0:1], s[0:1], s9, v15, v[0:1]
	v_mad_u64_u32 v[10:11], s[0:1], s8, v3, 0
	v_mov_b32_e32 v9, v0
	v_lshlrev_b64 v[0:1], 4, v[8:9]
	v_mov_b32_e32 v2, v11
	v_mad_u64_u32 v[2:3], s[0:1], s9, v3, v[2:3]
	v_add_co_u32_e32 v0, vcc, v13, v0
	v_addc_co_u32_e32 v1, vcc, v14, v1, vcc
	s_waitcnt lgkmcnt(0)
	global_store_dwordx4 v[0:1], v[4:7], off
	v_mov_b32_e32 v11, v2
	ds_read_b128 v[0:3], v12 offset:2048
	v_add_u32_e32 v15, 0x90, v194
	v_lshlrev_b64 v[4:5], 4, v[10:11]
	v_mad_u64_u32 v[8:9], s[0:1], s8, v15, 0
	v_add_co_u32_e32 v10, vcc, v13, v4
	v_addc_co_u32_e32 v11, vcc, v14, v5, vcc
	ds_read_b128 v[4:7], v12 offset:2304
	s_waitcnt lgkmcnt(1)
	global_store_dwordx4 v[10:11], v[0:3], off
	s_nop 0
	v_mov_b32_e32 v0, v9
	v_or_b32_e32 v3, 0xa0, v194
	v_mad_u64_u32 v[0:1], s[0:1], s9, v15, v[0:1]
	v_mad_u64_u32 v[10:11], s[0:1], s8, v3, 0
	v_mov_b32_e32 v9, v0
	v_lshlrev_b64 v[0:1], 4, v[8:9]
	v_mov_b32_e32 v2, v11
	v_mad_u64_u32 v[2:3], s[0:1], s9, v3, v[2:3]
	v_add_co_u32_e32 v0, vcc, v13, v0
	v_addc_co_u32_e32 v1, vcc, v14, v1, vcc
	s_waitcnt lgkmcnt(0)
	global_store_dwordx4 v[0:1], v[4:7], off
	v_mov_b32_e32 v11, v2
	ds_read_b128 v[0:3], v12 offset:2560
	v_add_u32_e32 v15, 0xb0, v194
	v_lshlrev_b64 v[4:5], 4, v[10:11]
	v_mad_u64_u32 v[8:9], s[0:1], s8, v15, 0
	v_add_co_u32_e32 v10, vcc, v13, v4
	v_addc_co_u32_e32 v11, vcc, v14, v5, vcc
	ds_read_b128 v[4:7], v12 offset:2816
	s_waitcnt lgkmcnt(1)
	global_store_dwordx4 v[10:11], v[0:3], off
	s_nop 0
	v_mov_b32_e32 v0, v9
	v_or_b32_e32 v3, 0xc0, v194
	v_mad_u64_u32 v[0:1], s[0:1], s9, v15, v[0:1]
	v_mad_u64_u32 v[10:11], s[0:1], s8, v3, 0
	v_mov_b32_e32 v9, v0
	v_lshlrev_b64 v[0:1], 4, v[8:9]
	v_mov_b32_e32 v2, v11
	v_mad_u64_u32 v[2:3], s[0:1], s9, v3, v[2:3]
	v_add_co_u32_e32 v0, vcc, v13, v0
	v_addc_co_u32_e32 v1, vcc, v14, v1, vcc
	s_waitcnt lgkmcnt(0)
	global_store_dwordx4 v[0:1], v[4:7], off
	v_mov_b32_e32 v11, v2
	ds_read_b128 v[0:3], v12 offset:3072
	v_lshlrev_b64 v[4:5], 4, v[10:11]
	v_add_co_u32_e32 v4, vcc, v13, v4
	v_addc_co_u32_e32 v5, vcc, v14, v5, vcc
	s_waitcnt lgkmcnt(0)
	global_store_dwordx4 v[4:5], v[0:3], off
.LBB0_20:
	s_endpgm
	.section	.rodata,"a",@progbits
	.p2align	6, 0x0
	.amdhsa_kernel fft_rtc_fwd_len208_factors_13_16_wgs_144_tpt_16_dp_op_CI_CI_sbcc_twdbase8_2step
		.amdhsa_group_segment_fixed_size 0
		.amdhsa_private_segment_fixed_size 0
		.amdhsa_kernarg_size 112
		.amdhsa_user_sgpr_count 6
		.amdhsa_user_sgpr_private_segment_buffer 1
		.amdhsa_user_sgpr_dispatch_ptr 0
		.amdhsa_user_sgpr_queue_ptr 0
		.amdhsa_user_sgpr_kernarg_segment_ptr 1
		.amdhsa_user_sgpr_dispatch_id 0
		.amdhsa_user_sgpr_flat_scratch_init 0
		.amdhsa_user_sgpr_private_segment_size 0
		.amdhsa_uses_dynamic_stack 0
		.amdhsa_system_sgpr_private_segment_wavefront_offset 0
		.amdhsa_system_sgpr_workgroup_id_x 1
		.amdhsa_system_sgpr_workgroup_id_y 0
		.amdhsa_system_sgpr_workgroup_id_z 0
		.amdhsa_system_sgpr_workgroup_info 0
		.amdhsa_system_vgpr_workitem_id 0
		.amdhsa_next_free_vgpr 249
		.amdhsa_next_free_sgpr 57
		.amdhsa_reserve_vcc 1
		.amdhsa_reserve_flat_scratch 0
		.amdhsa_float_round_mode_32 0
		.amdhsa_float_round_mode_16_64 0
		.amdhsa_float_denorm_mode_32 3
		.amdhsa_float_denorm_mode_16_64 3
		.amdhsa_dx10_clamp 1
		.amdhsa_ieee_mode 1
		.amdhsa_fp16_overflow 0
		.amdhsa_exception_fp_ieee_invalid_op 0
		.amdhsa_exception_fp_denorm_src 0
		.amdhsa_exception_fp_ieee_div_zero 0
		.amdhsa_exception_fp_ieee_overflow 0
		.amdhsa_exception_fp_ieee_underflow 0
		.amdhsa_exception_fp_ieee_inexact 0
		.amdhsa_exception_int_div_zero 0
	.end_amdhsa_kernel
	.text
.Lfunc_end0:
	.size	fft_rtc_fwd_len208_factors_13_16_wgs_144_tpt_16_dp_op_CI_CI_sbcc_twdbase8_2step, .Lfunc_end0-fft_rtc_fwd_len208_factors_13_16_wgs_144_tpt_16_dp_op_CI_CI_sbcc_twdbase8_2step
                                        ; -- End function
	.section	.AMDGPU.csdata,"",@progbits
; Kernel info:
; codeLenInByte = 11960
; NumSgprs: 61
; NumVgprs: 249
; ScratchSize: 0
; MemoryBound: 0
; FloatMode: 240
; IeeeMode: 1
; LDSByteSize: 0 bytes/workgroup (compile time only)
; SGPRBlocks: 7
; VGPRBlocks: 62
; NumSGPRsForWavesPerEU: 61
; NumVGPRsForWavesPerEU: 249
; Occupancy: 1
; WaveLimiterHint : 1
; COMPUTE_PGM_RSRC2:SCRATCH_EN: 0
; COMPUTE_PGM_RSRC2:USER_SGPR: 6
; COMPUTE_PGM_RSRC2:TRAP_HANDLER: 0
; COMPUTE_PGM_RSRC2:TGID_X_EN: 1
; COMPUTE_PGM_RSRC2:TGID_Y_EN: 0
; COMPUTE_PGM_RSRC2:TGID_Z_EN: 0
; COMPUTE_PGM_RSRC2:TIDIG_COMP_CNT: 0
	.type	__hip_cuid_82321593303a809c,@object ; @__hip_cuid_82321593303a809c
	.section	.bss,"aw",@nobits
	.globl	__hip_cuid_82321593303a809c
__hip_cuid_82321593303a809c:
	.byte	0                               ; 0x0
	.size	__hip_cuid_82321593303a809c, 1

	.ident	"AMD clang version 19.0.0git (https://github.com/RadeonOpenCompute/llvm-project roc-6.4.0 25133 c7fe45cf4b819c5991fe208aaa96edf142730f1d)"
	.section	".note.GNU-stack","",@progbits
	.addrsig
	.addrsig_sym __hip_cuid_82321593303a809c
	.amdgpu_metadata
---
amdhsa.kernels:
  - .args:
      - .actual_access:  read_only
        .address_space:  global
        .offset:         0
        .size:           8
        .value_kind:     global_buffer
      - .address_space:  global
        .offset:         8
        .size:           8
        .value_kind:     global_buffer
      - .offset:         16
        .size:           8
        .value_kind:     by_value
      - .actual_access:  read_only
        .address_space:  global
        .offset:         24
        .size:           8
        .value_kind:     global_buffer
      - .actual_access:  read_only
        .address_space:  global
        .offset:         32
        .size:           8
        .value_kind:     global_buffer
      - .actual_access:  read_only
        .address_space:  global
        .offset:         40
        .size:           8
        .value_kind:     global_buffer
      - .offset:         48
        .size:           8
        .value_kind:     by_value
      - .actual_access:  read_only
        .address_space:  global
        .offset:         56
        .size:           8
        .value_kind:     global_buffer
      - .actual_access:  read_only
        .address_space:  global
        .offset:         64
        .size:           8
        .value_kind:     global_buffer
      - .offset:         72
        .size:           4
        .value_kind:     by_value
      - .actual_access:  read_only
        .address_space:  global
        .offset:         80
        .size:           8
        .value_kind:     global_buffer
      - .actual_access:  read_only
        .address_space:  global
        .offset:         88
        .size:           8
        .value_kind:     global_buffer
      - .actual_access:  read_only
        .address_space:  global
        .offset:         96
        .size:           8
        .value_kind:     global_buffer
      - .actual_access:  write_only
        .address_space:  global
        .offset:         104
        .size:           8
        .value_kind:     global_buffer
    .group_segment_fixed_size: 0
    .kernarg_segment_align: 8
    .kernarg_segment_size: 112
    .language:       OpenCL C
    .language_version:
      - 2
      - 0
    .max_flat_workgroup_size: 144
    .name:           fft_rtc_fwd_len208_factors_13_16_wgs_144_tpt_16_dp_op_CI_CI_sbcc_twdbase8_2step
    .private_segment_fixed_size: 0
    .sgpr_count:     61
    .sgpr_spill_count: 0
    .symbol:         fft_rtc_fwd_len208_factors_13_16_wgs_144_tpt_16_dp_op_CI_CI_sbcc_twdbase8_2step.kd
    .uniform_work_group_size: 1
    .uses_dynamic_stack: false
    .vgpr_count:     249
    .vgpr_spill_count: 0
    .wavefront_size: 64
amdhsa.target:   amdgcn-amd-amdhsa--gfx906
amdhsa.version:
  - 1
  - 2
...

	.end_amdgpu_metadata
